;; amdgpu-corpus repo=ROCm/rocFFT kind=compiled arch=gfx1030 opt=O3
	.text
	.amdgcn_target "amdgcn-amd-amdhsa--gfx1030"
	.amdhsa_code_object_version 6
	.protected	fft_rtc_back_len2430_factors_10_3_3_3_3_3_wgs_81_tpt_81_halfLds_sp_op_CI_CI_unitstride_sbrr_C2R_dirReg ; -- Begin function fft_rtc_back_len2430_factors_10_3_3_3_3_3_wgs_81_tpt_81_halfLds_sp_op_CI_CI_unitstride_sbrr_C2R_dirReg
	.globl	fft_rtc_back_len2430_factors_10_3_3_3_3_3_wgs_81_tpt_81_halfLds_sp_op_CI_CI_unitstride_sbrr_C2R_dirReg
	.p2align	8
	.type	fft_rtc_back_len2430_factors_10_3_3_3_3_3_wgs_81_tpt_81_halfLds_sp_op_CI_CI_unitstride_sbrr_C2R_dirReg,@function
fft_rtc_back_len2430_factors_10_3_3_3_3_3_wgs_81_tpt_81_halfLds_sp_op_CI_CI_unitstride_sbrr_C2R_dirReg: ; @fft_rtc_back_len2430_factors_10_3_3_3_3_3_wgs_81_tpt_81_halfLds_sp_op_CI_CI_unitstride_sbrr_C2R_dirReg
; %bb.0:
	s_clause 0x2
	s_load_dwordx4 s[12:15], s[4:5], 0x0
	s_load_dwordx4 s[8:11], s[4:5], 0x58
	;; [unrolled: 1-line block ×3, first 2 shown]
	v_mul_u32_u24_e32 v1, 0x32a, v0
	v_mov_b32_e32 v3, 0
	v_add_nc_u32_sdwa v5, s6, v1 dst_sel:DWORD dst_unused:UNUSED_PAD src0_sel:DWORD src1_sel:WORD_1
	v_mov_b32_e32 v1, 0
	v_mov_b32_e32 v6, v3
	v_mov_b32_e32 v2, 0
	s_waitcnt lgkmcnt(0)
	v_cmp_lt_u64_e64 s0, s[14:15], 2
	s_and_b32 vcc_lo, exec_lo, s0
	s_cbranch_vccnz .LBB0_8
; %bb.1:
	s_load_dwordx2 s[0:1], s[4:5], 0x10
	v_mov_b32_e32 v1, 0
	v_mov_b32_e32 v2, 0
	s_add_u32 s2, s18, 8
	s_addc_u32 s3, s19, 0
	s_add_u32 s6, s16, 8
	s_addc_u32 s7, s17, 0
	v_mov_b32_e32 v43, v2
	v_mov_b32_e32 v42, v1
	s_mov_b64 s[22:23], 1
	s_waitcnt lgkmcnt(0)
	s_add_u32 s20, s0, 8
	s_addc_u32 s21, s1, 0
.LBB0_2:                                ; =>This Inner Loop Header: Depth=1
	s_load_dwordx2 s[24:25], s[20:21], 0x0
                                        ; implicit-def: $vgpr44_vgpr45
	s_mov_b32 s0, exec_lo
	s_waitcnt lgkmcnt(0)
	v_or_b32_e32 v4, s25, v6
	v_cmpx_ne_u64_e32 0, v[3:4]
	s_xor_b32 s1, exec_lo, s0
	s_cbranch_execz .LBB0_4
; %bb.3:                                ;   in Loop: Header=BB0_2 Depth=1
	v_cvt_f32_u32_e32 v4, s24
	v_cvt_f32_u32_e32 v7, s25
	s_sub_u32 s0, 0, s24
	s_subb_u32 s26, 0, s25
	v_fmac_f32_e32 v4, 0x4f800000, v7
	v_rcp_f32_e32 v4, v4
	v_mul_f32_e32 v4, 0x5f7ffffc, v4
	v_mul_f32_e32 v7, 0x2f800000, v4
	v_trunc_f32_e32 v7, v7
	v_fmac_f32_e32 v4, 0xcf800000, v7
	v_cvt_u32_f32_e32 v7, v7
	v_cvt_u32_f32_e32 v4, v4
	v_mul_lo_u32 v8, s0, v7
	v_mul_hi_u32 v9, s0, v4
	v_mul_lo_u32 v10, s26, v4
	v_add_nc_u32_e32 v8, v9, v8
	v_mul_lo_u32 v9, s0, v4
	v_add_nc_u32_e32 v8, v8, v10
	v_mul_hi_u32 v10, v4, v9
	v_mul_lo_u32 v11, v4, v8
	v_mul_hi_u32 v12, v4, v8
	v_mul_hi_u32 v13, v7, v9
	v_mul_lo_u32 v9, v7, v9
	v_mul_hi_u32 v14, v7, v8
	v_mul_lo_u32 v8, v7, v8
	v_add_co_u32 v10, vcc_lo, v10, v11
	v_add_co_ci_u32_e32 v11, vcc_lo, 0, v12, vcc_lo
	v_add_co_u32 v9, vcc_lo, v10, v9
	v_add_co_ci_u32_e32 v9, vcc_lo, v11, v13, vcc_lo
	v_add_co_ci_u32_e32 v10, vcc_lo, 0, v14, vcc_lo
	v_add_co_u32 v8, vcc_lo, v9, v8
	v_add_co_ci_u32_e32 v9, vcc_lo, 0, v10, vcc_lo
	v_add_co_u32 v4, vcc_lo, v4, v8
	v_add_co_ci_u32_e32 v7, vcc_lo, v7, v9, vcc_lo
	v_mul_hi_u32 v8, s0, v4
	v_mul_lo_u32 v10, s26, v4
	v_mul_lo_u32 v9, s0, v7
	v_add_nc_u32_e32 v8, v8, v9
	v_mul_lo_u32 v9, s0, v4
	v_add_nc_u32_e32 v8, v8, v10
	v_mul_hi_u32 v10, v4, v9
	v_mul_lo_u32 v11, v4, v8
	v_mul_hi_u32 v12, v4, v8
	v_mul_hi_u32 v13, v7, v9
	v_mul_lo_u32 v9, v7, v9
	v_mul_hi_u32 v14, v7, v8
	v_mul_lo_u32 v8, v7, v8
	v_add_co_u32 v10, vcc_lo, v10, v11
	v_add_co_ci_u32_e32 v11, vcc_lo, 0, v12, vcc_lo
	v_add_co_u32 v9, vcc_lo, v10, v9
	v_add_co_ci_u32_e32 v9, vcc_lo, v11, v13, vcc_lo
	v_add_co_ci_u32_e32 v10, vcc_lo, 0, v14, vcc_lo
	v_add_co_u32 v8, vcc_lo, v9, v8
	v_add_co_ci_u32_e32 v9, vcc_lo, 0, v10, vcc_lo
	v_add_co_u32 v4, vcc_lo, v4, v8
	v_add_co_ci_u32_e32 v11, vcc_lo, v7, v9, vcc_lo
	v_mul_hi_u32 v13, v5, v4
	v_mad_u64_u32 v[9:10], null, v6, v4, 0
	v_mad_u64_u32 v[7:8], null, v5, v11, 0
	;; [unrolled: 1-line block ×3, first 2 shown]
	v_add_co_u32 v4, vcc_lo, v13, v7
	v_add_co_ci_u32_e32 v7, vcc_lo, 0, v8, vcc_lo
	v_add_co_u32 v4, vcc_lo, v4, v9
	v_add_co_ci_u32_e32 v4, vcc_lo, v7, v10, vcc_lo
	v_add_co_ci_u32_e32 v7, vcc_lo, 0, v12, vcc_lo
	v_add_co_u32 v4, vcc_lo, v4, v11
	v_add_co_ci_u32_e32 v9, vcc_lo, 0, v7, vcc_lo
	v_mul_lo_u32 v10, s25, v4
	v_mad_u64_u32 v[7:8], null, s24, v4, 0
	v_mul_lo_u32 v11, s24, v9
	v_sub_co_u32 v7, vcc_lo, v5, v7
	v_add3_u32 v8, v8, v11, v10
	v_sub_nc_u32_e32 v10, v6, v8
	v_subrev_co_ci_u32_e64 v10, s0, s25, v10, vcc_lo
	v_add_co_u32 v11, s0, v4, 2
	v_add_co_ci_u32_e64 v12, s0, 0, v9, s0
	v_sub_co_u32 v13, s0, v7, s24
	v_sub_co_ci_u32_e32 v8, vcc_lo, v6, v8, vcc_lo
	v_subrev_co_ci_u32_e64 v10, s0, 0, v10, s0
	v_cmp_le_u32_e32 vcc_lo, s24, v13
	v_cmp_eq_u32_e64 s0, s25, v8
	v_cndmask_b32_e64 v13, 0, -1, vcc_lo
	v_cmp_le_u32_e32 vcc_lo, s25, v10
	v_cndmask_b32_e64 v14, 0, -1, vcc_lo
	v_cmp_le_u32_e32 vcc_lo, s24, v7
	;; [unrolled: 2-line block ×3, first 2 shown]
	v_cndmask_b32_e64 v15, 0, -1, vcc_lo
	v_cmp_eq_u32_e32 vcc_lo, s25, v10
	v_cndmask_b32_e64 v7, v15, v7, s0
	v_cndmask_b32_e32 v10, v14, v13, vcc_lo
	v_add_co_u32 v13, vcc_lo, v4, 1
	v_add_co_ci_u32_e32 v14, vcc_lo, 0, v9, vcc_lo
	v_cmp_ne_u32_e32 vcc_lo, 0, v10
	v_cndmask_b32_e32 v8, v14, v12, vcc_lo
	v_cndmask_b32_e32 v10, v13, v11, vcc_lo
	v_cmp_ne_u32_e32 vcc_lo, 0, v7
	v_cndmask_b32_e32 v45, v9, v8, vcc_lo
	v_cndmask_b32_e32 v44, v4, v10, vcc_lo
.LBB0_4:                                ;   in Loop: Header=BB0_2 Depth=1
	s_andn2_saveexec_b32 s0, s1
	s_cbranch_execz .LBB0_6
; %bb.5:                                ;   in Loop: Header=BB0_2 Depth=1
	v_cvt_f32_u32_e32 v4, s24
	s_sub_i32 s1, 0, s24
	v_mov_b32_e32 v45, v3
	v_rcp_iflag_f32_e32 v4, v4
	v_mul_f32_e32 v4, 0x4f7ffffe, v4
	v_cvt_u32_f32_e32 v4, v4
	v_mul_lo_u32 v7, s1, v4
	v_mul_hi_u32 v7, v4, v7
	v_add_nc_u32_e32 v4, v4, v7
	v_mul_hi_u32 v4, v5, v4
	v_mul_lo_u32 v7, v4, s24
	v_add_nc_u32_e32 v8, 1, v4
	v_sub_nc_u32_e32 v7, v5, v7
	v_subrev_nc_u32_e32 v9, s24, v7
	v_cmp_le_u32_e32 vcc_lo, s24, v7
	v_cndmask_b32_e32 v7, v7, v9, vcc_lo
	v_cndmask_b32_e32 v4, v4, v8, vcc_lo
	v_cmp_le_u32_e32 vcc_lo, s24, v7
	v_add_nc_u32_e32 v8, 1, v4
	v_cndmask_b32_e32 v44, v4, v8, vcc_lo
.LBB0_6:                                ;   in Loop: Header=BB0_2 Depth=1
	s_or_b32 exec_lo, exec_lo, s0
	v_mul_lo_u32 v4, v45, s24
	v_mul_lo_u32 v9, v44, s25
	s_load_dwordx2 s[0:1], s[6:7], 0x0
	v_mad_u64_u32 v[7:8], null, v44, s24, 0
	s_load_dwordx2 s[24:25], s[2:3], 0x0
	s_add_u32 s22, s22, 1
	s_addc_u32 s23, s23, 0
	s_add_u32 s2, s2, 8
	s_addc_u32 s3, s3, 0
	s_add_u32 s6, s6, 8
	v_add3_u32 v4, v8, v9, v4
	v_sub_co_u32 v5, vcc_lo, v5, v7
	s_addc_u32 s7, s7, 0
	s_add_u32 s20, s20, 8
	v_sub_co_ci_u32_e32 v4, vcc_lo, v6, v4, vcc_lo
	s_addc_u32 s21, s21, 0
	s_waitcnt lgkmcnt(0)
	v_mul_lo_u32 v6, s0, v4
	v_mul_lo_u32 v7, s1, v5
	v_mad_u64_u32 v[1:2], null, s0, v5, v[1:2]
	v_mul_lo_u32 v4, s24, v4
	v_mul_lo_u32 v8, s25, v5
	v_mad_u64_u32 v[42:43], null, s24, v5, v[42:43]
	v_cmp_ge_u64_e64 s0, s[22:23], s[14:15]
	v_add3_u32 v2, v7, v2, v6
	v_add3_u32 v43, v8, v43, v4
	s_and_b32 vcc_lo, exec_lo, s0
	s_cbranch_vccnz .LBB0_9
; %bb.7:                                ;   in Loop: Header=BB0_2 Depth=1
	v_mov_b32_e32 v5, v44
	v_mov_b32_e32 v6, v45
	s_branch .LBB0_2
.LBB0_8:
	v_mov_b32_e32 v43, v2
	v_mov_b32_e32 v45, v6
	;; [unrolled: 1-line block ×4, first 2 shown]
.LBB0_9:
	s_load_dwordx2 s[0:1], s[4:5], 0x28
	v_mul_hi_u32 v3, 0x3291620, v0
	s_lshl_b64 s[4:5], s[14:15], 3
                                        ; implicit-def: $vgpr40
	s_add_u32 s2, s18, s4
	s_addc_u32 s3, s19, s5
	s_waitcnt lgkmcnt(0)
	v_cmp_gt_u64_e32 vcc_lo, s[0:1], v[44:45]
	v_cmp_le_u64_e64 s0, s[0:1], v[44:45]
	s_and_saveexec_b32 s1, s0
	s_xor_b32 s0, exec_lo, s1
; %bb.10:
	v_mul_u32_u24_e32 v1, 0x51, v3
                                        ; implicit-def: $vgpr3
	v_sub_nc_u32_e32 v40, v0, v1
                                        ; implicit-def: $vgpr0
                                        ; implicit-def: $vgpr1_vgpr2
; %bb.11:
	s_or_saveexec_b32 s1, s0
	s_load_dwordx2 s[2:3], s[2:3], 0x0
	s_xor_b32 exec_lo, exec_lo, s1
	s_cbranch_execz .LBB0_15
; %bb.12:
	s_add_u32 s4, s16, s4
	s_addc_u32 s5, s17, s5
	v_lshlrev_b64 v[1:2], 3, v[1:2]
	s_load_dwordx2 s[4:5], s[4:5], 0x0
	s_waitcnt lgkmcnt(0)
	v_mul_lo_u32 v6, s5, v44
	v_mul_lo_u32 v7, s4, v45
	v_mad_u64_u32 v[4:5], null, s4, v44, 0
	v_add3_u32 v5, v5, v7, v6
	v_mul_u32_u24_e32 v6, 0x51, v3
	v_lshlrev_b64 v[3:4], 3, v[4:5]
	v_sub_nc_u32_e32 v40, v0, v6
	v_lshlrev_b32_e32 v41, 3, v40
	v_add_co_u32 v0, s0, s8, v3
	v_add_co_ci_u32_e64 v3, s0, s9, v4, s0
	v_add_co_u32 v0, s0, v0, v1
	v_add_co_ci_u32_e64 v1, s0, v3, v2, s0
	;; [unrolled: 2-line block ×3, first 2 shown]
	s_clause 0x3
	global_load_dwordx2 v[8:9], v[2:3], off
	global_load_dwordx2 v[10:11], v[2:3], off offset:648
	global_load_dwordx2 v[12:13], v[2:3], off offset:1296
	;; [unrolled: 1-line block ×3, first 2 shown]
	v_add_co_u32 v4, s0, 0x800, v2
	v_add_co_ci_u32_e64 v5, s0, 0, v3, s0
	v_add_co_u32 v6, s0, 0x1000, v2
	v_add_co_ci_u32_e64 v7, s0, 0, v3, s0
	;; [unrolled: 2-line block ×9, first 2 shown]
	s_clause 0x19
	global_load_dwordx2 v[26:27], v[4:5], off offset:544
	global_load_dwordx2 v[28:29], v[4:5], off offset:1192
	;; [unrolled: 1-line block ×26, first 2 shown]
	v_add_nc_u32_e32 v41, 0, v41
	v_cmp_eq_u32_e64 s0, 0x50, v40
	v_add_nc_u32_e32 v68, 0x800, v41
	v_add_nc_u32_e32 v69, 0xc00, v41
	v_add_nc_u32_e32 v70, 0x1000, v41
	v_add_nc_u32_e32 v71, 0x1800, v41
	v_add_nc_u32_e32 v72, 0x1c00, v41
	v_add_nc_u32_e32 v73, 0x2000, v41
	v_add_nc_u32_e32 v74, 0x2800, v41
	v_add_nc_u32_e32 v75, 0x2c00, v41
	v_add_nc_u32_e32 v76, 0x3000, v41
	v_add_nc_u32_e32 v77, 0x3400, v41
	v_add_nc_u32_e32 v78, 0x3800, v41
	v_add_nc_u32_e32 v79, 0x4000, v41
	v_add_nc_u32_e32 v80, 0x4400, v41
	s_waitcnt vmcnt(28)
	ds_write2_b64 v41, v[8:9], v[10:11] offset1:81
	s_waitcnt vmcnt(26)
	ds_write2_b64 v41, v[12:13], v[14:15] offset0:162 offset1:243
	s_waitcnt vmcnt(24)
	ds_write2_b64 v68, v[26:27], v[28:29] offset0:68 offset1:149
	s_waitcnt vmcnt(22)
	ds_write2_b64 v69, v[4:5], v[30:31] offset0:102 offset1:183
	s_waitcnt vmcnt(20)
	ds_write2_b64 v70, v[34:35], v[6:7] offset0:136 offset1:217
	s_waitcnt vmcnt(18)
	ds_write2_b64 v71, v[36:37], v[38:39] offset0:42 offset1:123
	s_waitcnt vmcnt(16)
	ds_write2_b64 v72, v[16:17], v[46:47] offset0:76 offset1:157
	s_waitcnt vmcnt(14)
	ds_write2_b64 v73, v[48:49], v[18:19] offset0:110 offset1:191
	s_waitcnt vmcnt(12)
	ds_write2_b64 v74, v[50:51], v[52:53] offset0:16 offset1:97
	s_waitcnt vmcnt(10)
	ds_write2_b64 v75, v[20:21], v[54:55] offset0:50 offset1:131
	s_waitcnt vmcnt(8)
	ds_write2_b64 v76, v[56:57], v[58:59] offset0:84 offset1:165
	s_waitcnt vmcnt(6)
	ds_write2_b64 v77, v[22:23], v[60:61] offset0:118 offset1:199
	s_waitcnt vmcnt(4)
	ds_write2_b64 v78, v[62:63], v[24:25] offset0:152 offset1:233
	s_waitcnt vmcnt(2)
	ds_write2_b64 v79, v[64:65], v[66:67] offset0:58 offset1:139
	s_waitcnt vmcnt(0)
	ds_write2_b64 v80, v[32:33], v[2:3] offset0:92 offset1:173
	s_and_saveexec_b32 s4, s0
	s_cbranch_execz .LBB0_14
; %bb.13:
	v_add_co_u32 v0, s0, 0x4800, v0
	v_add_co_ci_u32_e64 v1, s0, 0, v1, s0
	v_mov_b32_e32 v2, 0
	v_mov_b32_e32 v40, 0x50
	global_load_dwordx2 v[0:1], v[0:1], off offset:1008
	s_waitcnt vmcnt(0)
	ds_write_b64 v2, v[0:1] offset:19440
.LBB0_14:
	s_or_b32 exec_lo, exec_lo, s4
.LBB0_15:
	s_or_b32 exec_lo, exec_lo, s1
	v_lshlrev_b32_e32 v0, 3, v40
	s_waitcnt lgkmcnt(0)
	s_barrier
	buffer_gl0_inv
	s_add_u32 s1, s12, 0x4ba0
	v_add_nc_u32_e32 v50, 0, v0
	v_sub_nc_u32_e32 v4, 0, v0
	s_addc_u32 s4, s13, 0
	s_mov_b32 s5, exec_lo
                                        ; implicit-def: $vgpr2_vgpr3
	ds_read_b32 v5, v50
	ds_read_b32 v6, v4 offset:19440
	s_waitcnt lgkmcnt(0)
	v_add_f32_e32 v0, v6, v5
	v_sub_f32_e32 v1, v5, v6
	v_cmpx_ne_u32_e32 0, v40
	s_xor_b32 s5, exec_lo, s5
	s_cbranch_execz .LBB0_17
; %bb.16:
	v_mov_b32_e32 v41, 0
	v_add_f32_e32 v7, v6, v5
	v_sub_f32_e32 v8, v5, v6
	v_lshlrev_b64 v[0:1], 3, v[40:41]
	v_add_co_u32 v0, s0, s1, v0
	v_add_co_ci_u32_e64 v1, s0, s4, v1, s0
	global_load_dwordx2 v[2:3], v[0:1], off
	ds_read_b32 v0, v4 offset:19444
	ds_read_b32 v1, v50 offset:4
	s_waitcnt lgkmcnt(0)
	v_add_f32_e32 v9, v0, v1
	v_sub_f32_e32 v0, v1, v0
	s_waitcnt vmcnt(0)
	v_fma_f32 v5, -v8, v3, v7
	v_fma_f32 v6, v9, v3, -v0
	v_fma_f32 v10, v8, v3, v7
	v_fma_f32 v1, v9, v3, v0
	v_fmac_f32_e32 v5, v2, v9
	v_fmac_f32_e32 v6, v8, v2
	v_fma_f32 v0, -v2, v9, v10
	v_fmac_f32_e32 v1, v8, v2
	v_mov_b32_e32 v2, v40
	v_mov_b32_e32 v3, v41
	ds_write_b64 v4, v[5:6] offset:19440
.LBB0_17:
	s_andn2_saveexec_b32 s0, s5
	s_cbranch_execz .LBB0_19
; %bb.18:
	v_mov_b32_e32 v7, 0
	ds_read_b64 v[2:3], v7 offset:9720
	s_waitcnt lgkmcnt(0)
	v_add_f32_e32 v5, v2, v2
	v_mul_f32_e32 v6, -2.0, v3
	v_mov_b32_e32 v2, 0
	v_mov_b32_e32 v3, 0
	ds_write_b64 v7, v[5:6] offset:9720
.LBB0_19:
	s_or_b32 exec_lo, exec_lo, s0
	v_lshlrev_b64 v[2:3], 3, v[2:3]
	v_add_nc_u32_e32 v41, 0xc00, v50
	v_add_nc_u32_e32 v53, 0x1c00, v50
	;; [unrolled: 1-line block ×5, first 2 shown]
	v_add_co_u32 v2, s0, s1, v2
	v_add_co_ci_u32_e64 v3, s0, s4, v3, s0
	v_add_nc_u32_e32 v56, 0x2000, v50
	v_add_co_u32 v11, s0, 0x800, v2
	s_clause 0x2
	global_load_dwordx2 v[5:6], v[2:3], off offset:648
	global_load_dwordx2 v[7:8], v[2:3], off offset:1296
	;; [unrolled: 1-line block ×3, first 2 shown]
	v_add_co_ci_u32_e64 v12, s0, 0, v3, s0
	v_add_co_u32 v17, s0, 0x1000, v2
	s_clause 0x2
	global_load_dwordx2 v[13:14], v[11:12], off offset:544
	global_load_dwordx2 v[15:16], v[11:12], off offset:1192
	;; [unrolled: 1-line block ×3, first 2 shown]
	v_add_co_ci_u32_e64 v18, s0, 0, v3, s0
	ds_write_b64 v50, v[0:1]
	v_add_nc_u32_e32 v57, 0x3000, v50
	v_add_nc_u32_e32 v55, 0x4000, v50
	global_load_dwordx2 v[19:20], v[17:18], off offset:440
	ds_read_b64 v[0:1], v50 offset:648
	ds_read_b64 v[21:22], v4 offset:18792
	global_load_dwordx2 v[23:24], v[17:18], off offset:1088
	v_add_nc_u32_e32 v59, 0x1800, v50
	v_add_nc_u32_e32 v62, 0x800, v50
	;; [unrolled: 1-line block ×5, first 2 shown]
	s_waitcnt lgkmcnt(0)
	v_add_f32_e32 v25, v0, v21
	v_add_f32_e32 v26, v22, v1
	v_sub_f32_e32 v27, v0, v21
	v_sub_f32_e32 v0, v1, v22
	s_waitcnt vmcnt(7)
	v_fma_f32 v28, v27, v6, v25
	v_fma_f32 v1, v26, v6, v0
	v_fma_f32 v21, -v27, v6, v25
	v_fma_f32 v22, v26, v6, -v0
	v_fma_f32 v0, -v5, v26, v28
	v_fmac_f32_e32 v1, v27, v5
	v_fmac_f32_e32 v21, v5, v26
	;; [unrolled: 1-line block ×3, first 2 shown]
	ds_write_b64 v50, v[0:1] offset:648
	ds_write_b64 v4, v[21:22] offset:18792
	ds_read_b64 v[0:1], v50 offset:1296
	ds_read_b64 v[5:6], v4 offset:18144
	global_load_dwordx2 v[17:18], v[17:18], off offset:1736
	s_waitcnt lgkmcnt(0)
	v_add_f32_e32 v21, v0, v5
	v_add_f32_e32 v22, v6, v1
	v_sub_f32_e32 v25, v0, v5
	v_sub_f32_e32 v0, v1, v6
	s_waitcnt vmcnt(7)
	v_fma_f32 v26, v25, v8, v21
	v_fma_f32 v1, v22, v8, v0
	v_fma_f32 v5, -v25, v8, v21
	v_fma_f32 v6, v22, v8, -v0
	v_fma_f32 v0, -v7, v22, v26
	v_fmac_f32_e32 v1, v25, v7
	v_fmac_f32_e32 v5, v7, v22
	;; [unrolled: 1-line block ×3, first 2 shown]
	v_add_co_u32 v7, s0, 0x1800, v2
	v_add_co_ci_u32_e64 v8, s0, 0, v3, s0
	ds_write_b64 v50, v[0:1] offset:1296
	ds_write_b64 v4, v[5:6] offset:18144
	ds_read_b64 v[0:1], v50 offset:1944
	ds_read_b64 v[5:6], v4 offset:17496
	v_add_co_u32 v2, s0, 0x2000, v2
	global_load_dwordx2 v[21:22], v[7:8], off offset:336
	v_add_co_ci_u32_e64 v3, s0, 0, v3, s0
	v_cmp_gt_u32_e64 s0, 9, v40
	s_waitcnt lgkmcnt(0)
	v_add_f32_e32 v25, v0, v5
	v_add_f32_e32 v26, v6, v1
	v_sub_f32_e32 v27, v0, v5
	v_sub_f32_e32 v0, v1, v6
	s_waitcnt vmcnt(7)
	v_fma_f32 v28, v27, v10, v25
	v_fma_f32 v1, v26, v10, v0
	v_fma_f32 v5, -v27, v10, v25
	v_fma_f32 v6, v26, v10, -v0
	v_fma_f32 v0, -v9, v26, v28
	v_fmac_f32_e32 v1, v27, v9
	v_fmac_f32_e32 v5, v9, v26
	v_fmac_f32_e32 v6, v27, v9
	ds_write_b64 v50, v[0:1] offset:1944
	ds_write_b64 v4, v[5:6] offset:17496
	ds_read_b64 v[0:1], v50 offset:2592
	ds_read_b64 v[5:6], v4 offset:16848
	global_load_dwordx2 v[9:10], v[7:8], off offset:984
	s_waitcnt lgkmcnt(0)
	v_add_f32_e32 v25, v0, v5
	v_add_f32_e32 v26, v6, v1
	v_sub_f32_e32 v27, v0, v5
	v_sub_f32_e32 v0, v1, v6
	s_waitcnt vmcnt(7)
	v_fma_f32 v28, v27, v14, v25
	v_fma_f32 v1, v26, v14, v0
	v_fma_f32 v5, -v27, v14, v25
	v_fma_f32 v6, v26, v14, -v0
	v_fma_f32 v0, -v13, v26, v28
	v_fmac_f32_e32 v1, v27, v13
	v_fmac_f32_e32 v5, v13, v26
	v_fmac_f32_e32 v6, v27, v13
	ds_write_b64 v50, v[0:1] offset:2592
	ds_write_b64 v4, v[5:6] offset:16848
	ds_read_b64 v[0:1], v50 offset:3240
	ds_read_b64 v[5:6], v4 offset:16200
	global_load_dwordx2 v[7:8], v[7:8], off offset:1632
	;; [unrolled: 19-line block ×4, first 2 shown]
	s_waitcnt lgkmcnt(0)
	v_add_f32_e32 v2, v0, v5
	v_add_f32_e32 v15, v6, v1
	v_sub_f32_e32 v5, v0, v5
	v_sub_f32_e32 v0, v1, v6
	s_waitcnt vmcnt(7)
	v_fma_f32 v6, v5, v20, v2
	v_fma_f32 v1, v15, v20, v0
	v_fma_f32 v2, -v5, v20, v2
	v_fma_f32 v3, v15, v20, -v0
	v_fma_f32 v0, -v19, v15, v6
	v_fmac_f32_e32 v1, v5, v19
	v_fmac_f32_e32 v2, v19, v15
	v_fmac_f32_e32 v3, v5, v19
	ds_write_b64 v50, v[0:1] offset:4536
	ds_write_b64 v4, v[2:3] offset:14904
	ds_read_b64 v[0:1], v50 offset:5184
	ds_read_b64 v[2:3], v4 offset:14256
	s_waitcnt lgkmcnt(0)
	v_add_f32_e32 v5, v0, v2
	v_add_f32_e32 v6, v3, v1
	v_sub_f32_e32 v15, v0, v2
	v_sub_f32_e32 v0, v1, v3
	s_waitcnt vmcnt(6)
	v_fma_f32 v16, v15, v24, v5
	v_fma_f32 v1, v6, v24, v0
	v_fma_f32 v2, -v15, v24, v5
	v_fma_f32 v3, v6, v24, -v0
	v_fma_f32 v0, -v23, v6, v16
	v_fmac_f32_e32 v1, v15, v23
	v_fmac_f32_e32 v2, v23, v6
	v_fmac_f32_e32 v3, v15, v23
	ds_write_b64 v50, v[0:1] offset:5184
	ds_write_b64 v4, v[2:3] offset:14256
	ds_read_b64 v[0:1], v50 offset:5832
	ds_read_b64 v[2:3], v4 offset:13608
	;; [unrolled: 18-line block ×7, first 2 shown]
	s_waitcnt lgkmcnt(0)
	v_add_f32_e32 v5, v0, v2
	v_add_f32_e32 v6, v3, v1
	v_sub_f32_e32 v7, v0, v2
	v_sub_f32_e32 v1, v1, v3
	s_waitcnt vmcnt(0)
	v_fma_f32 v2, v7, v12, v5
	v_fma_f32 v3, v6, v12, v1
	v_fma_f32 v0, -v7, v12, v5
	v_fma_f32 v1, v6, v12, -v1
	v_fma_f32 v2, -v11, v6, v2
	v_fmac_f32_e32 v3, v7, v11
	v_fmac_f32_e32 v0, v11, v6
	;; [unrolled: 1-line block ×3, first 2 shown]
	ds_write_b64 v50, v[2:3] offset:9072
	ds_write_b64 v4, v[0:1] offset:10368
	s_waitcnt lgkmcnt(0)
	s_barrier
	buffer_gl0_inv
	s_barrier
	buffer_gl0_inv
	ds_read2_b64 v[12:15], v41 offset0:102 offset1:183
	ds_read2_b64 v[34:37], v53 offset0:76 offset1:157
	;; [unrolled: 1-line block ×4, first 2 shown]
	ds_read2_b64 v[0:3], v50 offset1:81
	ds_read2_b64 v[4:7], v50 offset0:162 offset1:243
	ds_read2_b64 v[107:110], v54 offset0:136 offset1:217
	;; [unrolled: 1-line block ×9, first 2 shown]
	s_waitcnt lgkmcnt(7)
	v_add_f32_e32 v64, v4, v107
	v_add_f32_e32 v66, v5, v108
	s_waitcnt lgkmcnt(5)
	v_add_f32_e32 v28, v130, v139
	v_sub_f32_e32 v92, v14, v36
	v_sub_f32_e32 v93, v15, v37
	;; [unrolled: 1-line block ×3, first 2 shown]
	v_add_f32_e32 v29, v2, v14
	v_add_f32_e32 v31, v3, v15
	v_sub_f32_e32 v30, v14, v128
	v_sub_f32_e32 v48, v36, v14
	v_add_f32_e32 v72, v15, v129
	v_sub_f32_e32 v71, v37, v15
	v_add_f32_e32 v79, v14, v128
	v_add_f32_e32 v14, v0, v12
	;; [unrolled: 1-line block ×3, first 2 shown]
	v_sub_f32_e32 v76, v12, v34
	v_sub_f32_e32 v49, v34, v12
	;; [unrolled: 1-line block ×5, first 2 shown]
	v_add_f32_e32 v82, v12, v126
	v_sub_f32_e32 v26, v12, v126
	v_add_f32_e32 v83, v13, v127
	v_add_f32_e32 v12, v6, v109
	;; [unrolled: 1-line block ×3, first 2 shown]
	s_waitcnt lgkmcnt(2)
	v_add_f32_e32 v67, v8, v147
	v_add_f32_e32 v68, v9, v148
	;; [unrolled: 1-line block ×7, first 2 shown]
	v_sub_f32_e32 v96, v129, v125
	v_add_f32_e32 v65, v37, v125
	v_sub_f32_e32 v24, v37, v125
	v_sub_f32_e32 v138, v125, v129
	v_add_f32_e32 v80, v34, v122
	v_sub_f32_e32 v16, v35, v123
	v_add_f32_e32 v81, v35, v123
	v_sub_f32_e32 v17, v34, v122
	v_sub_f32_e32 v102, v107, v130
	;; [unrolled: 1-line block ×4, first 2 shown]
	v_add_f32_e32 v34, v64, v130
	v_add_f32_e32 v35, v66, v131
	;; [unrolled: 1-line block ×5, first 2 shown]
	s_waitcnt lgkmcnt(1)
	v_add_f32_e32 v125, v67, v151
	v_add_f32_e32 v130, v68, v152
	;; [unrolled: 1-line block ×4, first 2 shown]
	ds_read2_b64 v[12:15], v60 offset0:92 offset1:173
	v_add_f32_e32 v69, v36, v124
	v_sub_f32_e32 v23, v36, v124
	v_add_f32_e32 v70, v10, v149
	v_add_f32_e32 v36, v29, v36
	v_sub_f32_e32 v95, v128, v124
	v_sub_f32_e32 v74, v124, v128
	;; [unrolled: 1-line block ×6, first 2 shown]
	v_add_f32_e32 v86, v133, v142
	v_sub_f32_e32 v106, v110, v133
	v_sub_f32_e32 v99, v133, v110
	;; [unrolled: 1-line block ×5, first 2 shown]
	v_add_f32_e32 v73, v11, v150
	v_sub_f32_e32 v135, v152, v148
	v_add_f32_e32 v36, v36, v124
	s_waitcnt lgkmcnt(1)
	v_add_f32_e32 v91, v154, v158
	v_add_f32_e32 v70, v70, v153
	v_sub_f32_e32 v122, v139, v143
	v_sub_f32_e32 v120, v144, v140
	v_add_f32_e32 v133, v34, v139
	s_waitcnt lgkmcnt(0)
	v_add_f32_e32 v123, v147, v12
	v_add_f32_e32 v124, v148, v13
	v_add_f32_e32 v139, v150, v15
	v_sub_f32_e32 v137, v156, v13
	v_add_f32_e32 v85, v132, v141
	v_sub_f32_e32 v46, v131, v108
	v_add_f32_e32 v89, v109, v145
	v_add_f32_e32 v90, v110, v146
	v_sub_f32_e32 v22, v108, v144
	v_add_f32_e32 v33, v107, v143
	v_sub_f32_e32 v21, v107, v143
	v_add_f32_e32 v63, v108, v144
	v_add_f32_e32 v107, v151, v155
	;; [unrolled: 1-line block ×3, first 2 shown]
	v_sub_f32_e32 v87, v151, v155
	v_sub_f32_e32 v84, v152, v156
	;; [unrolled: 1-line block ×3, first 2 shown]
	v_add_f32_e32 v136, v73, v154
	v_add_f32_e32 v134, v35, v140
	;; [unrolled: 1-line block ×8, first 2 shown]
	v_sub_f32_e32 v129, v15, v158
	v_fma_f32 v91, -0.5, v91, v11
	v_fmac_f32_e32 v11, -0.5, v139
	v_fma_f32 v139, -0.5, v65, v3
	v_fmac_f32_e32 v3, -0.5, v72
	v_add_nc_u32_e32 v65, 0xf3, v40
	v_add_f32_e32 v137, v135, v137
	v_mov_b32_e32 v135, 0xcccd
	v_add_f32_e32 v100, v100, v122
	v_add_f32_e32 v101, v101, v120
	v_fma_f32 v120, -0.5, v123, v8
	v_fma_f32 v122, -0.5, v124, v9
	;; [unrolled: 1-line block ×7, first 2 shown]
	v_sub_f32_e32 v105, v109, v132
	v_sub_f32_e32 v98, v132, v109
	;; [unrolled: 1-line block ×3, first 2 shown]
	v_add_f32_e32 v47, v131, v140
	v_sub_f32_e32 v39, v110, v146
	v_sub_f32_e32 v38, v109, v145
	;; [unrolled: 1-line block ×3, first 2 shown]
	v_add_f32_e32 v36, v36, v128
	v_sub_f32_e32 v110, v148, v13
	v_sub_f32_e32 v109, v147, v12
	v_add_f32_e32 v128, v136, v158
	v_sub_f32_e32 v130, v14, v157
	v_add_f32_e32 v92, v92, v95
	v_mul_u32_u24_sdwa v95, v65, v135 dst_sel:DWORD dst_unused:UNUSED_PAD src0_sel:WORD_0 src1_sel:DWORD
	v_fma_f32 v108, -0.5, v108, v9
	v_fma_f32 v107, -0.5, v107, v8
	;; [unrolled: 1-line block ×7, first 2 shown]
	v_add_f32_e32 v89, v115, v129
	v_fmamk_f32 v90, v87, 0xbf737871, v122
	v_fmac_f32_e32 v122, 0x3f737871, v87
	v_add_f32_e32 v6, v125, v12
	v_add_f32_e32 v7, v126, v13
	;; [unrolled: 1-line block ×3, first 2 shown]
	v_fmamk_f32 v125, v23, 0xbf737871, v3
	v_fmac_f32_e32 v3, 0x3f737871, v23
	v_fmamk_f32 v126, v84, 0x3f737871, v120
	v_fmamk_f32 v127, v24, 0x3f737871, v2
	v_fmac_f32_e32 v2, 0xbf737871, v24
	v_fmac_f32_e32 v120, 0xbf737871, v84
	v_fmamk_f32 v129, v17, 0xbf737871, v81
	v_fmac_f32_e32 v81, 0x3f737871, v17
	v_add_f32_e32 v78, v153, v157
	v_add_f32_e32 v64, v133, v143
	v_fma_f32 v143, -0.5, v47, v5
	v_add_f32_e32 v103, v76, v103
	v_lshrrev_b32_e32 v76, 19, v95
	v_add_f32_e32 v95, v118, v130
	v_add_f32_e32 v124, v128, v15
	v_fmamk_f32 v128, v32, 0xbf737871, v123
	v_fmac_f32_e32 v123, 0x3f737871, v32
	v_fmac_f32_e32 v127, 0xbf167918, v32
	v_fmac_f32_e32 v2, 0x3f167918, v32
	v_fmamk_f32 v32, v30, 0x3f737871, v139
	v_fmac_f32_e32 v139, 0xbf737871, v30
	v_fmac_f32_e32 v3, 0xbf167918, v30
	v_fmac_f32_e32 v125, 0x3f167918, v30
	;; [unrolled: 4-line block ×4, first 2 shown]
	v_fmamk_f32 v109, v16, 0x3f737871, v69
	v_fmac_f32_e32 v69, 0xbf737871, v16
	v_fmamk_f32 v130, v26, 0x3f737871, v80
	v_fmac_f32_e32 v80, 0xbf737871, v26
	v_fmac_f32_e32 v129, 0x3f167918, v26
	;; [unrolled: 1-line block ×3, first 2 shown]
	v_fmamk_f32 v26, v25, 0xbf737871, v86
	v_fmac_f32_e32 v86, 0x3f737871, v25
	v_sub_f32_e32 v31, v153, v157
	v_sub_f32_e32 v20, v131, v140
	;; [unrolled: 1-line block ×6, first 2 shown]
	v_add_f32_e32 v88, v149, v14
	v_sub_f32_e32 v73, v149, v14
	v_add_f32_e32 v66, v134, v144
	v_sub_f32_e32 v134, v12, v155
	v_sub_f32_e32 v133, v13, v156
	v_fmac_f32_e32 v5, -0.5, v63
	v_fmac_f32_e32 v110, 0x3f167918, v87
	v_fmac_f32_e32 v108, 0xbf167918, v87
	v_fmamk_f32 v87, v27, 0xbf737871, v79
	v_fmac_f32_e32 v79, 0x3f737871, v27
	v_fmac_f32_e32 v128, 0xbf167918, v24
	;; [unrolled: 1-line block ×5, first 2 shown]
	v_fmamk_f32 v24, v39, 0xbf737871, v83
	v_fmac_f32_e32 v83, 0x3f737871, v39
	v_fmamk_f32 v27, v38, 0x3f737871, v82
	v_fmac_f32_e32 v82, 0xbf737871, v38
	v_fmac_f32_e32 v26, 0x3f167918, v38
	;; [unrolled: 1-line block ×3, first 2 shown]
	v_fma_f32 v38, -0.5, v78, v10
	v_fmamk_f32 v149, v21, 0x3f737871, v143
	v_fmac_f32_e32 v143, 0xbf737871, v21
	v_sub_f32_e32 v117, v146, v142
	v_sub_f32_e32 v159, v151, v147
	;; [unrolled: 1-line block ×4, first 2 shown]
	v_fmac_f32_e32 v30, 0xbf167918, v84
	v_fmac_f32_e32 v107, 0x3f167918, v84
	v_fma_f32 v147, -0.5, v28, v4
	v_fma_f32 v84, -0.5, v33, v4
	v_fmamk_f32 v4, v31, 0xbf737871, v11
	v_fmac_f32_e32 v11, 0x3f737871, v31
	v_sub_f32_e32 v112, v142, v146
	v_sub_f32_e32 v116, v145, v141
	;; [unrolled: 1-line block ×3, first 2 shown]
	v_add_f32_e32 v119, v119, v134
	v_add_f32_e32 v121, v121, v133
	v_fmac_f32_e32 v32, 0x3f167918, v23
	v_fmac_f32_e32 v139, 0xbf167918, v23
	v_fmamk_f32 v23, v18, 0x3f737871, v85
	v_fmac_f32_e32 v85, 0xbf737871, v18
	v_fma_f32 v10, -0.5, v88, v10
	v_fmac_f32_e32 v24, 0xbf167918, v18
	v_fmac_f32_e32 v83, 0x3f167918, v18
	v_fmamk_f32 v150, v19, 0xbf737871, v5
	v_fmac_f32_e32 v5, 0x3f737871, v19
	v_fmac_f32_e32 v149, 0x3f167918, v19
	;; [unrolled: 1-line block ×3, first 2 shown]
	v_fmamk_f32 v18, v77, 0xbf737871, v38
	v_fmamk_f32 v19, v73, 0x3f737871, v91
	v_fmac_f32_e32 v91, 0xbf737871, v73
	v_sub_f32_e32 v132, v140, v144
	v_sub_f32_e32 v140, v155, v12
	v_add_f32_e32 v142, v151, v70
	v_add_f32_e32 v106, v106, v117
	v_fmac_f32_e32 v82, 0xbf167918, v25
	v_fmac_f32_e32 v11, 0xbf167918, v73
	v_sub_f32_e32 v113, v141, v145
	v_add_f32_e32 v99, v99, v112
	v_add_f32_e32 v105, v105, v116
	v_fmac_f32_e32 v27, 0x3f167918, v25
	v_sub_f32_e32 v136, v157, v14
	v_fmamk_f32 v25, v29, 0x3f737871, v10
	v_fmac_f32_e32 v10, 0xbf737871, v29
	v_fmac_f32_e32 v38, 0x3f737871, v77
	;; [unrolled: 1-line block ×8, first 2 shown]
	v_add_f32_e32 v140, v159, v140
	v_fmamk_f32 v88, v22, 0xbf737871, v147
	v_fmac_f32_e32 v147, 0x3f737871, v22
	v_fmac_f32_e32 v11, 0x3e9e377a, v142
	;; [unrolled: 1-line block ×5, first 2 shown]
	v_add_f32_e32 v67, v67, v145
	v_add_f32_e32 v98, v98, v113
	v_fmac_f32_e32 v85, 0x3f167918, v39
	v_fmac_f32_e32 v108, 0x3e9e377a, v121
	;; [unrolled: 1-line block ×3, first 2 shown]
	v_add_f32_e32 v68, v68, v146
	v_fmac_f32_e32 v27, 0x3e9e377a, v106
	v_fmac_f32_e32 v24, 0x3e9e377a, v105
	v_mul_u32_u24_e32 v141, 10, v40
	v_add_f32_e32 v131, v131, v136
	v_add_f32_e32 v93, v93, v96
	;; [unrolled: 1-line block ×4, first 2 shown]
	v_fmac_f32_e32 v23, 0xbf167918, v39
	v_fmac_f32_e32 v130, 0x3f167918, v17
	;; [unrolled: 1-line block ×3, first 2 shown]
	v_fmamk_f32 v148, v20, 0x3f737871, v84
	v_fmac_f32_e32 v84, 0xbf737871, v20
	v_fmac_f32_e32 v10, 0x3f167918, v77
	;; [unrolled: 1-line block ×9, first 2 shown]
	v_mul_f32_e32 v28, 0xbf167918, v110
	v_mul_f32_e32 v29, 0x3f167918, v30
	v_add_f32_e32 v138, v71, v138
	v_add_f32_e32 v136, v48, v74
	v_fmac_f32_e32 v88, 0xbf167918, v20
	v_fmac_f32_e32 v147, 0x3f167918, v20
	;; [unrolled: 1-line block ×6, first 2 shown]
	v_mul_f32_e32 v20, 0xbf737871, v11
	v_mul_f32_e32 v21, 0xbe9e377a, v11
	;; [unrolled: 1-line block ×8, first 2 shown]
	v_fmac_f32_e32 v87, 0xbf167918, v16
	v_fmac_f32_e32 v79, 0x3f167918, v16
	v_add_f32_e32 v8, v34, v67
	v_sub_f32_e32 v12, v34, v67
	v_add_f32_e32 v14, v64, v115
	v_sub_f32_e32 v16, v64, v115
	v_fmac_f32_e32 v107, 0x3e9e377a, v119
	v_fmac_f32_e32 v85, 0x3e9e377a, v98
	;; [unrolled: 1-line block ×3, first 2 shown]
	v_mul_f32_e32 v64, 0xbf737871, v86
	v_mul_f32_e32 v67, 0xbe9e377a, v86
	;; [unrolled: 1-line block ×4, first 2 shown]
	v_add_f32_e32 v9, v35, v68
	v_sub_f32_e32 v13, v35, v68
	v_mul_f32_e32 v34, 0xbf167918, v27
	v_mul_f32_e32 v35, 0x3f167918, v24
	v_lshl_add_u32 v141, v141, 3, 0
	v_add_f32_e32 v132, v46, v132
	v_add_f32_e32 v114, v75, v114
	;; [unrolled: 1-line block ×3, first 2 shown]
	v_fmac_f32_e32 v148, 0xbf167918, v22
	v_fmac_f32_e32 v84, 0x3f167918, v22
	;; [unrolled: 1-line block ×3, first 2 shown]
	v_add_f32_e32 v0, v36, v6
	v_add_f32_e32 v1, v37, v7
	v_sub_f32_e32 v6, v36, v6
	v_sub_f32_e32 v7, v37, v7
	v_fmac_f32_e32 v128, 0x3e9e377a, v92
	v_fmac_f32_e32 v123, 0x3e9e377a, v92
	v_fmac_f32_e32 v32, 0x3e9e377a, v93
	v_fmac_f32_e32 v139, 0x3e9e377a, v93
	v_fmac_f32_e32 v109, 0x3e9e377a, v97
	v_fmac_f32_e32 v69, 0x3e9e377a, v97
	v_fmac_f32_e32 v23, 0x3e9e377a, v98
	v_fmac_f32_e32 v130, 0x3e9e377a, v94
	v_fmac_f32_e32 v80, 0x3e9e377a, v94
	v_fmac_f32_e32 v38, 0x3e9e377a, v95
	v_fmac_f32_e32 v25, 0x3e9e377a, v131
	v_mul_f32_e32 v36, 0xbf737871, v26
	v_mul_f32_e32 v37, 0x3e9e377a, v26
	;; [unrolled: 1-line block ×8, first 2 shown]
	v_fmac_f32_e32 v28, 0x3f4f1bbd, v30
	v_fmac_f32_e32 v29, 0x3f4f1bbd, v110
	;; [unrolled: 1-line block ×16, first 2 shown]
	v_add_nc_u32_e32 v70, 0x51, v40
	v_fmac_f32_e32 v87, 0x3e9e377a, v103
	v_fmac_f32_e32 v34, 0x3f4f1bbd, v24
	;; [unrolled: 1-line block ×3, first 2 shown]
	v_add_nc_u32_e32 v134, 0x1950, v141
	v_fmac_f32_e32 v5, 0x3e9e377a, v132
	v_fmac_f32_e32 v129, 0x3e9e377a, v114
	;; [unrolled: 1-line block ×21, first 2 shown]
	v_add_f32_e32 v22, v128, v28
	v_add_f32_e32 v23, v32, v29
	v_add_nc_u32_e32 v133, 0x1960, v141
	v_add_f32_e32 v4, v3, v11
	v_sub_f32_e32 v11, v3, v11
	v_add_f32_e32 v26, v127, v31
	v_add_f32_e32 v27, v125, v33
	;; [unrolled: 1-line block ×3, first 2 shown]
	v_add_nc_u32_e32 v144, 0x1970, v141
	v_add_f32_e32 v15, v66, v124
	v_sub_f32_e32 v17, v66, v124
	v_add_f32_e32 v38, v69, v64
	v_sub_f32_e32 v66, v69, v64
	v_add_f32_e32 v68, v79, v73
	v_add_f32_e32 v69, v80, v78
	v_sub_f32_e32 v77, v79, v73
	v_sub_f32_e32 v78, v80, v78
	v_add_f32_e32 v79, v123, v86
	v_add_f32_e32 v80, v139, v89
	v_add_nc_u32_e32 v145, 0x1980, v141
	v_sub_f32_e32 v24, v128, v28
	v_sub_f32_e32 v25, v32, v29
	;; [unrolled: 1-line block ×4, first 2 shown]
	v_add_nc_u32_e32 v72, 0xa2, v40
	v_and_b32_e32 v47, 0xff, v70
	v_add_f32_e32 v30, v87, v34
	v_add_f32_e32 v31, v130, v35
	v_add_nc_u32_e32 v104, 0x1990, v141
	v_add_nc_u32_e32 v116, 0x32a0, v141
	;; [unrolled: 1-line block ×6, first 2 shown]
	s_barrier
	buffer_gl0_inv
	v_add_f32_e32 v19, v5, v21
	v_sub_f32_e32 v21, v5, v21
	v_sub_f32_e32 v32, v87, v34
	;; [unrolled: 1-line block ×3, first 2 shown]
	v_add_f32_e32 v34, v109, v36
	v_add_f32_e32 v35, v129, v37
	v_sub_f32_e32 v36, v109, v36
	v_sub_f32_e32 v37, v129, v37
	v_add_f32_e32 v39, v81, v67
	v_sub_f32_e32 v67, v81, v67
	v_sub_f32_e32 v10, v2, v82
	;; [unrolled: 1-line block ×4, first 2 shown]
	v_add_f32_e32 v18, v84, v20
	v_sub_f32_e32 v20, v84, v20
	v_add_f32_e32 v83, v88, v90
	v_add_f32_e32 v84, v149, v92
	v_sub_f32_e32 v85, v88, v90
	v_sub_f32_e32 v86, v149, v92
	v_add_f32_e32 v87, v148, v93
	v_add_f32_e32 v88, v150, v94
	v_sub_f32_e32 v89, v148, v93
	;; [unrolled: 4-line block ×3, first 2 shown]
	v_sub_f32_e32 v94, v143, v97
	ds_write2_b64 v134, v[0:1], v[22:23] offset1:1
	ds_write2_b64 v133, v[26:27], v[3:4] offset1:1
	;; [unrolled: 1-line block ×5, first 2 shown]
	ds_write2_b64 v141, v[34:35], v[38:39] offset0:2 offset1:3
	ds_write2_b64 v141, v[68:69], v[12:13] offset0:4 offset1:5
	;; [unrolled: 1-line block ×4, first 2 shown]
	ds_write2_b64 v104, v[10:11], v[81:82] offset1:1
	ds_write2_b64 v116, v[14:15], v[83:84] offset1:1
	;; [unrolled: 1-line block ×6, first 2 shown]
	v_add_nc_u32_e32 v66, 0x195, v40
	v_and_b32_e32 v46, 0xff, v72
	v_mul_lo_u16 v48, 0xcd, v47
	v_add_nc_u32_e32 v68, 0x1e6, v40
	v_add_nc_u32_e32 v63, 0x144, v40
	v_mul_u32_u24_sdwa v12, v66, v135 dst_sel:DWORD dst_unused:UNUSED_PAD src0_sel:WORD_0 src1_sel:DWORD
	v_mul_lo_u16 v49, 0xcd, v46
	v_lshrrev_b16 v74, 11, v48
	v_mul_u32_u24_sdwa v16, v68, v135 dst_sel:DWORD dst_unused:UNUSED_PAD src0_sel:WORD_0 src1_sel:DWORD
	v_add_nc_u32_e32 v69, 0x237, v40
	v_lshrrev_b32_e32 v80, 19, v12
	v_mul_u32_u24_sdwa v96, v63, v135 dst_sel:DWORD dst_unused:UNUSED_PAD src0_sel:WORD_0 src1_sel:DWORD
	v_lshrrev_b16 v75, 11, v49
	v_mul_lo_u16 v48, v74, 10
	v_add_nc_u32_e32 v64, 0x288, v40
	v_lshrrev_b32_e32 v84, 19, v16
	v_mul_lo_u16 v16, v80, 10
	v_mul_u32_u24_sdwa v17, v69, v135 dst_sel:DWORD dst_unused:UNUSED_PAD src0_sel:WORD_0 src1_sel:DWORD
	v_mov_b32_e32 v71, 4
	v_mul_lo_u16 v49, v75, 10
	v_sub_nc_u16 v48, v70, v48
	v_lshrrev_b32_e32 v79, 19, v96
	v_and_b32_e32 v77, 0xff, v40
	v_mul_lo_u16 v18, v84, 10
	v_sub_nc_u16 v85, v66, v16
	v_mul_u32_u24_sdwa v16, v64, v135 dst_sel:DWORD dst_unused:UNUSED_PAD src0_sel:WORD_0 src1_sel:DWORD
	v_lshrrev_b32_e32 v88, 19, v17
	v_add_nc_u32_e32 v67, 0x2d9, v40
	v_sub_nc_u16 v49, v72, v49
	v_lshlrev_b32_sdwa v118, v71, v48 dst_sel:DWORD dst_unused:UNUSED_PAD src0_sel:DWORD src1_sel:BYTE_0
	v_mul_lo_u16 v8, v76, 10
	v_mul_lo_u16 v9, v79, 10
	;; [unrolled: 1-line block ×3, first 2 shown]
	v_sub_nc_u16 v86, v68, v18
	v_mul_lo_u16 v20, v88, 10
	v_lshrrev_b32_e32 v90, 19, v16
	v_mul_u32_u24_sdwa v19, v67, v135 dst_sel:DWORD dst_unused:UNUSED_PAD src0_sel:WORD_0 src1_sel:DWORD
	v_lshlrev_b32_sdwa v146, v71, v49 dst_sel:DWORD dst_unused:UNUSED_PAD src0_sel:DWORD src1_sel:BYTE_0
	s_waitcnt lgkmcnt(0)
	s_barrier
	buffer_gl0_inv
	global_load_dwordx4 v[4:7], v118, s[12:13]
	v_sub_nc_u16 v78, v65, v8
	v_sub_nc_u16 v83, v63, v9
	v_lshlrev_b32_sdwa v18, v71, v85 dst_sel:DWORD dst_unused:UNUSED_PAD src0_sel:DWORD src1_sel:WORD_0
	v_lshlrev_b32_sdwa v16, v71, v86 dst_sel:DWORD dst_unused:UNUSED_PAD src0_sel:DWORD src1_sel:WORD_0
	v_lshrrev_b16 v94, 11, v17
	v_sub_nc_u16 v87, v69, v20
	v_mul_lo_u16 v17, v90, 10
	v_lshrrev_b32_e32 v92, 19, v19
	global_load_dwordx4 v[0:3], v146, s[12:13]
	v_lshlrev_b32_sdwa v8, v71, v78 dst_sel:DWORD dst_unused:UNUSED_PAD src0_sel:DWORD src1_sel:WORD_0
	v_lshlrev_b32_sdwa v13, v71, v83 dst_sel:DWORD dst_unused:UNUSED_PAD src0_sel:DWORD src1_sel:WORD_0
	s_clause 0x1
	global_load_dwordx4 v[36:39], v18, s[12:13]
	global_load_dwordx4 v[32:35], v16, s[12:13]
	v_lshlrev_b32_sdwa v16, v71, v87 dst_sel:DWORD dst_unused:UNUSED_PAD src0_sel:DWORD src1_sel:WORD_0
	v_sub_nc_u16 v89, v64, v17
	v_mul_lo_u16 v17, v94, 10
	v_mul_lo_u16 v18, v92, 10
	s_clause 0x2
	global_load_dwordx4 v[8:11], v8, s[12:13]
	global_load_dwordx4 v[12:15], v13, s[12:13]
	;; [unrolled: 1-line block ×3, first 2 shown]
	v_lshlrev_b32_sdwa v16, v71, v89 dst_sel:DWORD dst_unused:UNUSED_PAD src0_sel:DWORD src1_sel:WORD_0
	v_sub_nc_u16 v93, v40, v17
	v_sub_nc_u16 v91, v67, v18
	v_mov_b32_e32 v95, 0x8889
	v_mul_lo_u16 v97, 0x89, v46
	global_load_dwordx4 v[28:31], v16, s[12:13]
	v_lshlrev_b32_sdwa v16, v71, v93 dst_sel:DWORD dst_unused:UNUSED_PAD src0_sel:DWORD src1_sel:BYTE_0
	v_lshlrev_b32_sdwa v17, v71, v91 dst_sel:DWORD dst_unused:UNUSED_PAD src0_sel:DWORD src1_sel:WORD_0
	s_clause 0x1
	global_load_dwordx4 v[20:23], v16, s[12:13]
	global_load_dwordx4 v[16:19], v17, s[12:13]
	v_mul_u32_u24_sdwa v81, v65, v95 dst_sel:DWORD dst_unused:UNUSED_PAD src0_sel:WORD_0 src1_sel:DWORD
	v_mov_b32_e32 v73, 3
	v_mul_u32_u24_e32 v99, 0xf0, v80
	v_lshrrev_b16 v80, 12, v97
	v_mov_b32_e32 v96, 0xf0
	v_lshrrev_b32_e32 v81, 20, v81
	v_mul_u32_u24_e32 v98, 0xf0, v79
	v_mul_u32_u24_e32 v88, 0xf0, v88
	;; [unrolled: 1-line block ×3, first 2 shown]
	v_mul_lo_u16 v90, v80, 30
	v_mul_lo_u16 v79, v81, 30
	v_lshlrev_b32_sdwa v87, v73, v87 dst_sel:DWORD dst_unused:UNUSED_PAD src0_sel:DWORD src1_sel:WORD_0
	v_mul_u32_u24_sdwa v94, v94, v96 dst_sel:DWORD dst_unused:UNUSED_PAD src0_sel:WORD_0 src1_sel:DWORD
	v_mul_u32_u24_e32 v84, 0xf0, v84
	v_mul_u32_u24_sdwa v97, v74, v96 dst_sel:DWORD dst_unused:UNUSED_PAD src0_sel:WORD_0 src1_sel:DWORD
	v_mul_u32_u24_sdwa v75, v75, v96 dst_sel:DWORD dst_unused:UNUSED_PAD src0_sel:WORD_0 src1_sel:DWORD
	v_sub_nc_u16 v74, v65, v79
	v_lshlrev_b32_sdwa v83, v73, v83 dst_sel:DWORD dst_unused:UNUSED_PAD src0_sel:DWORD src1_sel:WORD_0
	v_lshlrev_b32_sdwa v85, v73, v85 dst_sel:DWORD dst_unused:UNUSED_PAD src0_sel:DWORD src1_sel:WORD_0
	;; [unrolled: 1-line block ×4, first 2 shown]
	v_sub_nc_u16 v79, v72, v90
	v_add3_u32 v130, 0, v88, v87
	ds_read2_b64 v[87:90], v57 offset0:165 offset1:246
	v_add3_u32 v127, 0, v98, v83
	v_add3_u32 v128, 0, v99, v85
	;; [unrolled: 1-line block ×3, first 2 shown]
	ds_read2_b64 v[83:86], v59 offset0:123 offset1:204
	v_mul_u32_u24_e32 v76, 0xf0, v76
	v_mul_u32_u24_e32 v92, 0xf0, v92
	v_lshlrev_b32_sdwa v93, v73, v93 dst_sel:DWORD dst_unused:UNUSED_PAD src0_sel:DWORD src1_sel:BYTE_0
	v_lshlrev_b32_sdwa v78, v73, v78 dst_sel:DWORD dst_unused:UNUSED_PAD src0_sel:DWORD src1_sel:WORD_0
	v_lshlrev_b32_sdwa v91, v73, v91 dst_sel:DWORD dst_unused:UNUSED_PAD src0_sel:DWORD src1_sel:WORD_0
	v_lshlrev_b32_sdwa v48, v73, v48 dst_sel:DWORD dst_unused:UNUSED_PAD src0_sel:DWORD src1_sel:BYTE_0
	v_lshlrev_b32_sdwa v49, v73, v49 dst_sel:DWORD dst_unused:UNUSED_PAD src0_sel:DWORD src1_sel:BYTE_0
	v_add_nc_u32_e32 v100, 0x2400, v50
	v_add_nc_u32_e32 v104, 0x3c00, v50
	v_add3_u32 v126, 0, v94, v93
	v_add3_u32 v78, 0, v76, v78
	;; [unrolled: 1-line block ×6, first 2 shown]
	ds_read2_b64 v[91:94], v56 offset0:29 offset1:110
	ds_read2_b64 v[96:99], v52 offset0:71 offset1:152
	;; [unrolled: 1-line block ×6, first 2 shown]
	ds_read2_b32 v[48:49], v59 offset0:84 offset1:85
	ds_read2_b64 v[116:119], v57 offset0:3 offset1:84
	ds_read_b64 v[75:76], v50 offset:18792
	ds_read2_b64 v[120:123], v50 offset1:81
	v_mul_u32_u24_sdwa v82, v63, v95 dst_sel:DWORD dst_unused:UNUSED_PAD src0_sel:WORD_0 src1_sel:DWORD
	v_mul_u32_u24_sdwa v124, v66, v95 dst_sel:DWORD dst_unused:UNUSED_PAD src0_sel:WORD_0 src1_sel:DWORD
	v_lshlrev_b32_sdwa v133, v71, v79 dst_sel:DWORD dst_unused:UNUSED_PAD src0_sel:DWORD src1_sel:BYTE_0
	v_lshlrev_b32_sdwa v125, v71, v74 dst_sel:DWORD dst_unused:UNUSED_PAD src0_sel:DWORD src1_sel:WORD_0
	v_mul_lo_u16 v46, 0xb7, v46
	v_lshrrev_b32_e32 v82, 20, v82
	v_mul_u32_u24_e32 v81, 0x2d0, v81
	v_lshlrev_b32_sdwa v79, v73, v79 dst_sel:DWORD dst_unused:UNUSED_PAD src0_sel:DWORD src1_sel:BYTE_0
	s_waitcnt vmcnt(9) lgkmcnt(11)
	v_mul_f32_e32 v137, v88, v7
	v_mul_f32_e32 v7, v87, v7
	s_waitcnt lgkmcnt(10)
	v_mul_f32_e32 v136, v84, v5
	v_mul_f32_e32 v5, v83, v5
	v_fmac_f32_e32 v137, v87, v6
	v_fma_f32 v87, v88, v6, -v7
	v_fmac_f32_e32 v136, v83, v4
	v_fma_f32 v140, v84, v4, -v5
	s_waitcnt vmcnt(8)
	v_mul_f32_e32 v138, v86, v1
	v_mul_f32_e32 v1, v85, v1
	;; [unrolled: 1-line block ×4, first 2 shown]
	ds_read2_b64 v[3:6], v50 offset0:162 offset1:243
	v_fmac_f32_e32 v138, v85, v0
	v_fma_f32 v0, v86, v0, -v1
	v_fmac_f32_e32 v139, v89, v2
	v_fma_f32 v2, v90, v2, -v7
	s_waitcnt vmcnt(5) lgkmcnt(10)
	v_mul_f32_e32 v1, v92, v9
	v_mul_f32_e32 v7, v91, v9
	s_waitcnt lgkmcnt(9)
	v_mul_f32_e32 v88, v97, v11
	v_mul_f32_e32 v9, v96, v11
	s_waitcnt vmcnt(4)
	v_mul_f32_e32 v89, v94, v13
	v_mul_f32_e32 v11, v93, v13
	;; [unrolled: 1-line block ×4, first 2 shown]
	ds_read2_b64 v[83:86], v62 offset0:68 offset1:149
	v_fmac_f32_e32 v1, v91, v8
	v_fma_f32 v91, v92, v8, -v7
	v_fmac_f32_e32 v88, v96, v10
	v_fma_f32 v92, v97, v10, -v9
	;; [unrolled: 2-line block ×3, first 2 shown]
	ds_read2_b64 v[7:10], v41 offset0:102 offset1:183
	v_fmac_f32_e32 v90, v98, v14
	v_fma_f32 v93, v99, v14, -v13
	ds_read2_b64 v[11:14], v54 offset0:136 offset1:217
	s_waitcnt lgkmcnt(11)
	v_mul_f32_e32 v94, v101, v37
	s_waitcnt lgkmcnt(10)
	v_mul_f32_e32 v98, v107, v35
	v_mul_f32_e32 v35, v106, v35
	;; [unrolled: 1-line block ×6, first 2 shown]
	v_fmac_f32_e32 v94, v100, v36
	v_fmac_f32_e32 v98, v106, v34
	v_fma_f32 v34, v107, v34, -v35
	s_waitcnt vmcnt(1) lgkmcnt(7)
	v_mul_f32_e32 v35, v49, v21
	v_mul_f32_e32 v21, v21, v48
	s_waitcnt lgkmcnt(6)
	v_mul_f32_e32 v100, v119, v23
	v_mul_f32_e32 v23, v118, v23
	;; [unrolled: 1-line block ×3, first 2 shown]
	v_fma_f32 v36, v101, v36, -v37
	v_fma_f32 v37, v105, v38, -v39
	v_mul_f32_e32 v39, v113, v27
	v_fmac_f32_e32 v97, v102, v32
	v_mul_f32_e32 v27, v112, v27
	s_waitcnt vmcnt(0)
	v_mul_f32_e32 v101, v117, v17
	v_mul_f32_e32 v17, v116, v17
	s_waitcnt lgkmcnt(5)
	v_mul_f32_e32 v102, v76, v19
	v_mul_f32_e32 v19, v75, v19
	v_fmac_f32_e32 v35, v20, v48
	v_fma_f32 v20, v49, v20, -v21
	v_fma_f32 v21, v119, v22, -v23
	v_fmac_f32_e32 v96, v104, v38
	v_mul_f32_e32 v38, v109, v25
	v_mul_f32_e32 v25, v108, v25
	v_fma_f32 v32, v103, v32, -v33
	v_mul_f32_e32 v33, v111, v29
	v_mul_f32_e32 v29, v110, v29
	;; [unrolled: 1-line block ×4, first 2 shown]
	v_fmac_f32_e32 v100, v118, v22
	v_fmac_f32_e32 v39, v112, v26
	v_fma_f32 v103, v113, v26, -v27
	v_fmac_f32_e32 v101, v116, v16
	v_fma_f32 v22, v117, v16, -v17
	;; [unrolled: 2-line block ×3, first 2 shown]
	s_waitcnt lgkmcnt(4)
	v_add_f32_e32 v16, v121, v20
	v_add_f32_e32 v26, v20, v21
	v_sub_f32_e32 v49, v20, v21
	v_add_f32_e32 v18, v122, v136
	s_waitcnt lgkmcnt(3)
	v_add_f32_e32 v20, v4, v0
	v_fmac_f32_e32 v38, v108, v24
	v_fma_f32 v24, v109, v24, -v25
	v_fmac_f32_e32 v33, v110, v28
	v_fma_f32 v25, v111, v28, -v29
	;; [unrolled: 2-line block ×3, first 2 shown]
	v_add_f32_e32 v23, v35, v100
	v_add_f32_e32 v17, v120, v35
	;; [unrolled: 1-line block ×8, first 2 shown]
	v_sub_f32_e32 v75, v35, v100
	v_sub_f32_e32 v105, v0, v2
	v_add_f32_e32 v35, v0, v2
	v_add_f32_e32 v106, v138, v139
	v_sub_f32_e32 v107, v138, v139
	s_waitcnt lgkmcnt(2)
	v_add_f32_e32 v112, v84, v15
	v_sub_f32_e32 v113, v15, v93
	v_add_f32_e32 v114, v15, v93
	s_waitcnt lgkmcnt(1)
	v_add_f32_e32 v138, v8, v32
	v_add_f32_e32 v141, v32, v34
	v_add_f32_e32 v15, v18, v137
	v_add_f32_e32 v18, v20, v2
	s_waitcnt lgkmcnt(0)
	v_add_f32_e32 v2, v14, v22
	v_sub_f32_e32 v104, v136, v137
	v_sub_f32_e32 v108, v91, v92
	v_add_f32_e32 v91, v91, v92
	v_add_f32_e32 v110, v1, v88
	v_sub_f32_e32 v111, v1, v88
	v_add_f32_e32 v116, v89, v90
	v_add_f32_e32 v117, v86, v36
	;; [unrolled: 3-line block ×3, first 2 shown]
	v_add_f32_e32 v136, v94, v96
	v_add_f32_e32 v142, v97, v98
	;; [unrolled: 1-line block ×8, first 2 shown]
	v_sub_f32_e32 v137, v38, v39
	v_add_f32_e32 v38, v25, v31
	v_add_f32_e32 v17, v29, v139
	;; [unrolled: 1-line block ×5, first 2 shown]
	v_sub_f32_e32 v109, v22, v48
	v_add_f32_e32 v88, v22, v48
	v_fma_f32 v21, -0.5, v23, v120
	v_fma_f32 v22, -0.5, v26, v121
	v_add_f32_e32 v92, v101, v102
	v_sub_f32_e32 v76, v140, v87
	v_fma_f32 v122, -0.5, v27, v122
	v_fmac_f32_e32 v123, -0.5, v28
	v_sub_f32_e32 v140, v32, v34
	v_add_f32_e32 v32, v7, v97
	v_sub_f32_e32 v97, v97, v98
	v_add_f32_e32 v28, v138, v34
	v_add_f32_e32 v34, v2, v48
	v_fma_f32 v2, -0.5, v106, v3
	v_fma_f32 v3, -0.5, v35, v4
	v_fma_f32 v8, -0.5, v141, v8
	v_add_f32_e32 v115, v83, v89
	v_sub_f32_e32 v89, v89, v90
	v_sub_f32_e32 v94, v94, v96
	v_add_f32_e32 v145, v10, v24
	v_sub_f32_e32 v100, v24, v103
	v_add_f32_e32 v147, v12, v25
	v_add_f32_e32 v87, v11, v33
	v_sub_f32_e32 v148, v25, v31
	v_sub_f32_e32 v149, v33, v99
	v_add_f32_e32 v33, v13, v101
	v_sub_f32_e32 v101, v101, v102
	v_add_f32_e32 v26, v117, v37
	v_add_f32_e32 v25, v36, v96
	v_fma_f32 v5, -0.5, v110, v5
	v_fmac_f32_e32 v6, -0.5, v91
	v_fma_f32 v35, -0.5, v116, v83
	v_fma_f32 v36, -0.5, v114, v84
	;; [unrolled: 1-line block ×3, first 2 shown]
	v_fmac_f32_e32 v86, -0.5, v119
	v_fma_f32 v7, -0.5, v142, v7
	v_fma_f32 v9, -0.5, v144, v9
	v_fmac_f32_e32 v10, -0.5, v146
	v_fma_f32 v11, -0.5, v139, v11
	v_fma_f32 v12, -0.5, v38, v12
	;; [unrolled: 1-line block ×3, first 2 shown]
	v_fmac_f32_e32 v14, -0.5, v88
	v_fmamk_f32 v37, v49, 0xbf5db3d7, v21
	v_fmamk_f32 v38, v75, 0x3f5db3d7, v22
	v_fmac_f32_e32 v21, 0x3f5db3d7, v49
	v_fmac_f32_e32 v22, 0xbf5db3d7, v75
	v_fmamk_f32 v48, v76, 0xbf5db3d7, v122
	v_fmamk_f32 v49, v104, 0x3f5db3d7, v123
	v_fmac_f32_e32 v122, 0x3f5db3d7, v76
	v_fmac_f32_e32 v123, 0xbf5db3d7, v104
	v_fmamk_f32 v75, v105, 0xbf5db3d7, v2
	v_fmamk_f32 v76, v107, 0x3f5db3d7, v3
	;; [unrolled: 1-line block ×3, first 2 shown]
	v_fmac_f32_e32 v8, 0xbf5db3d7, v97
	s_barrier
	buffer_gl0_inv
	v_add_f32_e32 v24, v112, v93
	v_add_f32_e32 v23, v115, v90
	;; [unrolled: 1-line block ×8, first 2 shown]
	v_fmac_f32_e32 v2, 0x3f5db3d7, v105
	v_fmac_f32_e32 v3, 0xbf5db3d7, v107
	v_fmamk_f32 v83, v108, 0xbf5db3d7, v5
	v_fmamk_f32 v84, v111, 0x3f5db3d7, v6
	v_fmac_f32_e32 v5, 0x3f5db3d7, v108
	v_fmac_f32_e32 v6, 0xbf5db3d7, v111
	v_fmamk_f32 v87, v113, 0xbf5db3d7, v35
	v_fmamk_f32 v88, v89, 0x3f5db3d7, v36
	;; [unrolled: 4-line block ×3, first 2 shown]
	v_fmac_f32_e32 v85, 0x3f5db3d7, v118
	v_fmac_f32_e32 v86, 0xbf5db3d7, v94
	v_fmamk_f32 v91, v140, 0xbf5db3d7, v7
	v_fmac_f32_e32 v7, 0x3f5db3d7, v140
	v_fmamk_f32 v93, v100, 0xbf5db3d7, v9
	;; [unrolled: 2-line block ×7, first 2 shown]
	v_fmac_f32_e32 v14, 0xbf5db3d7, v101
	ds_write2_b64 v126, v[0:1], v[37:38] offset1:10
	ds_write_b64 v126, v[21:22] offset:160
	ds_write2_b64 v134, v[15:16], v[48:49] offset1:10
	ds_write_b64 v134, v[122:123] offset:160
	;; [unrolled: 2-line block ×10, first 2 shown]
	v_mul_lo_u16 v8, v82, 30
	v_mul_u32_u24_sdwa v12, v69, v95 dst_sel:DWORD dst_unused:UNUSED_PAD src0_sel:WORD_0 src1_sel:DWORD
	v_mul_u32_u24_sdwa v16, v64, v95 dst_sel:DWORD dst_unused:UNUSED_PAD src0_sel:WORD_0 src1_sel:DWORD
	v_lshrrev_b32_e32 v49, 20, v124
	s_waitcnt lgkmcnt(0)
	v_sub_nc_u16 v48, v63, v8
	v_mul_u32_u24_sdwa v8, v68, v95 dst_sel:DWORD dst_unused:UNUSED_PAD src0_sel:WORD_0 src1_sel:DWORD
	v_lshrrev_b32_e32 v76, 20, v12
	v_lshrrev_b32_e32 v86, 20, v16
	v_mul_lo_u16 v9, v49, 30
	s_barrier
	v_lshrrev_b32_e32 v75, 20, v8
	v_mul_lo_u16 v16, v76, 30
	v_mul_lo_u16 v18, v86, 30
	buffer_gl0_inv
	global_load_dwordx4 v[4:7], v133, s[12:13] offset:160
	v_mul_lo_u16 v17, v75, 30
	v_sub_nc_u16 v85, v69, v16
	v_mul_lo_u16 v16, 0x89, v77
	v_sub_nc_u16 v83, v66, v9
	v_sub_nc_u16 v87, v64, v18
	;; [unrolled: 1-line block ×3, first 2 shown]
	v_mul_u32_u24_sdwa v17, v67, v95 dst_sel:DWORD dst_unused:UNUSED_PAD src0_sel:WORD_0 src1_sel:DWORD
	v_lshrrev_b16 v91, 12, v16
	v_mul_lo_u16 v18, 0x89, v47
	global_load_dwordx4 v[0:3], v125, s[12:13] offset:160
	v_lshlrev_b32_sdwa v9, v71, v48 dst_sel:DWORD dst_unused:UNUSED_PAD src0_sel:DWORD src1_sel:WORD_0
	v_lshrrev_b32_e32 v88, 20, v17
	v_lshlrev_b32_sdwa v13, v71, v83 dst_sel:DWORD dst_unused:UNUSED_PAD src0_sel:DWORD src1_sel:WORD_0
	v_mul_lo_u16 v20, v91, 30
	v_lshrrev_b16 v92, 12, v18
	global_load_dwordx4 v[8:11], v9, s[12:13] offset:160
	v_mul_lo_u16 v16, v88, 30
	global_load_dwordx4 v[12:15], v13, s[12:13] offset:160
	v_sub_nc_u16 v90, v40, v20
	v_mul_lo_u16 v20, v92, 30
	v_lshlrev_b32_sdwa v19, v71, v84 dst_sel:DWORD dst_unused:UNUSED_PAD src0_sel:DWORD src1_sel:WORD_0
	v_sub_nc_u16 v47, v67, v16
	v_lshlrev_b32_sdwa v17, v71, v85 dst_sel:DWORD dst_unused:UNUSED_PAD src0_sel:DWORD src1_sel:WORD_0
	v_mov_b32_e32 v93, 0x2d83
	v_sub_nc_u16 v89, v70, v20
	global_load_dwordx4 v[36:39], v19, s[12:13] offset:160
	v_lshlrev_b32_sdwa v21, v71, v47 dst_sel:DWORD dst_unused:UNUSED_PAD src0_sel:DWORD src1_sel:WORD_0
	global_load_dwordx4 v[32:35], v17, s[12:13] offset:160
	v_lshlrev_b32_sdwa v19, v71, v87 dst_sel:DWORD dst_unused:UNUSED_PAD src0_sel:DWORD src1_sel:WORD_0
	v_lshlrev_b32_sdwa v20, v71, v89 dst_sel:DWORD dst_unused:UNUSED_PAD src0_sel:DWORD src1_sel:BYTE_0
	v_mul_u32_u24_sdwa v77, v65, v93 dst_sel:DWORD dst_unused:UNUSED_PAD src0_sel:WORD_0 src1_sel:DWORD
	global_load_dwordx4 v[24:27], v21, s[12:13] offset:160
	v_lshlrev_b32_sdwa v21, v71, v90 dst_sel:DWORD dst_unused:UNUSED_PAD src0_sel:DWORD src1_sel:BYTE_0
	global_load_dwordx4 v[16:19], v19, s[12:13] offset:160
	v_mov_b32_e32 v94, 0x2d0
	v_lshrrev_b32_e32 v77, 20, v77
	v_mul_u32_u24_e32 v96, 0x2d0, v76
	s_clause 0x1
	global_load_dwordx4 v[28:31], v21, s[12:13] offset:160
	global_load_dwordx4 v[20:23], v20, s[12:13] offset:160
	v_lshrrev_b16 v76, 14, v46
	v_mul_lo_u16 v46, 0x5a, v77
	v_mul_u32_u24_sdwa v91, v91, v94 dst_sel:DWORD dst_unused:UNUSED_PAD src0_sel:WORD_0 src1_sel:DWORD
	v_mul_u32_u24_e32 v82, 0x2d0, v82
	v_mul_u32_u24_e32 v49, 0x2d0, v49
	;; [unrolled: 1-line block ×3, first 2 shown]
	v_mul_u32_u24_sdwa v92, v92, v94 dst_sel:DWORD dst_unused:UNUSED_PAD src0_sel:WORD_0 src1_sel:DWORD
	v_mul_u32_u24_sdwa v94, v80, v94 dst_sel:DWORD dst_unused:UNUSED_PAD src0_sel:WORD_0 src1_sel:DWORD
	v_mul_lo_u16 v80, 0x5a, v76
	v_sub_nc_u16 v75, v65, v46
	v_lshlrev_b32_sdwa v46, v73, v90 dst_sel:DWORD dst_unused:UNUSED_PAD src0_sel:DWORD src1_sel:BYTE_0
	v_lshlrev_b32_sdwa v90, v73, v74 dst_sel:DWORD dst_unused:UNUSED_PAD src0_sel:DWORD src1_sel:WORD_0
	v_lshlrev_b32_sdwa v48, v73, v48 dst_sel:DWORD dst_unused:UNUSED_PAD src0_sel:DWORD src1_sel:WORD_0
	;; [unrolled: 1-line block ×3, first 2 shown]
	v_sub_nc_u16 v74, v72, v80
	v_lshlrev_b32_sdwa v97, v73, v47 dst_sel:DWORD dst_unused:UNUSED_PAD src0_sel:DWORD src1_sel:WORD_0
	v_add3_u32 v129, 0, v81, v90
	v_add3_u32 v130, 0, v82, v48
	;; [unrolled: 1-line block ×3, first 2 shown]
	ds_read2_b64 v[80:83], v61 offset0:118 offset1:199
	v_add3_u32 v128, 0, v91, v46
	ds_read2_b64 v[46:49], v53 offset0:76 offset1:157
	v_lshlrev_b32_sdwa v84, v73, v84 dst_sel:DWORD dst_unused:UNUSED_PAD src0_sel:DWORD src1_sel:WORD_0
	v_mul_u32_u24_e32 v86, 0x2d0, v86
	v_mul_u32_u24_e32 v88, 0x2d0, v88
	v_lshlrev_b32_sdwa v85, v73, v85 dst_sel:DWORD dst_unused:UNUSED_PAD src0_sel:DWORD src1_sel:WORD_0
	v_lshlrev_b32_sdwa v87, v73, v87 dst_sel:DWORD dst_unused:UNUSED_PAD src0_sel:DWORD src1_sel:WORD_0
	v_add3_u32 v132, 0, v95, v84
	v_lshlrev_b32_sdwa v84, v73, v89 dst_sel:DWORD dst_unused:UNUSED_PAD src0_sel:DWORD src1_sel:BYTE_0
	v_add3_u32 v135, 0, v88, v97
	v_add3_u32 v133, 0, v96, v85
	;; [unrolled: 1-line block ×5, first 2 shown]
	ds_read2_b64 v[84:87], v56 offset0:110 offset1:191
	ds_read2_b64 v[88:91], v52 offset0:152 offset1:233
	;; [unrolled: 1-line block ×6, first 2 shown]
	ds_read_b64 v[122:123], v50 offset:6480
	ds_read2_b64 v[110:113], v57 offset0:84 offset1:165
	ds_read2_b32 v[124:125], v59 offset0:246 offset1:247
	ds_read2_b64 v[114:117], v50 offset1:81
	ds_read2_b64 v[118:121], v50 offset0:162 offset1:243
	v_mul_u32_u24_sdwa v78, v63, v93 dst_sel:DWORD dst_unused:UNUSED_PAD src0_sel:WORD_0 src1_sel:DWORD
	v_mul_u32_u24_sdwa v126, v66, v93 dst_sel:DWORD dst_unused:UNUSED_PAD src0_sel:WORD_0 src1_sel:DWORD
	v_lshlrev_b32_sdwa v136, v71, v74 dst_sel:DWORD dst_unused:UNUSED_PAD src0_sel:DWORD src1_sel:BYTE_0
	v_lshlrev_b32_sdwa v127, v71, v75 dst_sel:DWORD dst_unused:UNUSED_PAD src0_sel:DWORD src1_sel:WORD_0
	v_lshlrev_b32_sdwa v75, v73, v75 dst_sel:DWORD dst_unused:UNUSED_PAD src0_sel:DWORD src1_sel:WORD_0
	v_lshrrev_b32_e32 v78, 20, v78
	v_lshlrev_b32_sdwa v74, v73, v74 dst_sel:DWORD dst_unused:UNUSED_PAD src0_sel:DWORD src1_sel:BYTE_0
	s_waitcnt vmcnt(9) lgkmcnt(12)
	v_mul_f32_e32 v92, v81, v7
	v_mul_f32_e32 v7, v80, v7
	s_waitcnt lgkmcnt(11)
	v_mul_f32_e32 v79, v47, v5
	v_mul_f32_e32 v5, v46, v5
	v_fmac_f32_e32 v92, v80, v6
	v_fma_f32 v80, v81, v6, -v7
	v_fmac_f32_e32 v79, v46, v4
	v_fma_f32 v140, v47, v4, -v5
	s_waitcnt vmcnt(8)
	v_mul_f32_e32 v139, v49, v1
	v_mul_f32_e32 v1, v48, v1
	;; [unrolled: 1-line block ×4, first 2 shown]
	ds_read2_b64 v[3:6], v62 offset0:68 offset1:149
	v_fmac_f32_e32 v139, v48, v0
	v_fma_f32 v0, v49, v0, -v1
	v_fmac_f32_e32 v81, v82, v2
	v_fma_f32 v2, v83, v2, -v7
	s_waitcnt vmcnt(7) lgkmcnt(11)
	v_mul_f32_e32 v1, v85, v9
	v_mul_f32_e32 v7, v84, v9
	s_waitcnt lgkmcnt(10)
	v_mul_f32_e32 v82, v89, v11
	v_mul_f32_e32 v9, v88, v11
	s_waitcnt vmcnt(6)
	v_mul_f32_e32 v11, v87, v13
	v_mul_f32_e32 v13, v86, v13
	ds_read2_b64 v[46:49], v41 offset0:102 offset1:183
	v_fmac_f32_e32 v1, v84, v8
	v_fma_f32 v83, v85, v8, -v7
	v_fmac_f32_e32 v11, v86, v12
	v_fma_f32 v12, v87, v12, -v13
	v_mul_f32_e32 v13, v90, v15
	v_fmac_f32_e32 v82, v88, v10
	v_fma_f32 v84, v89, v10, -v9
	ds_read2_b64 v[7:10], v54 offset0:136 offset1:217
	v_mul_f32_e32 v85, v91, v15
	s_waitcnt vmcnt(5) lgkmcnt(11)
	v_mul_f32_e32 v15, v95, v37
	v_mul_f32_e32 v37, v94, v37
	v_fma_f32 v86, v91, v14, -v13
	s_waitcnt lgkmcnt(10)
	v_mul_f32_e32 v87, v99, v39
	v_mul_f32_e32 v13, v98, v39
	s_waitcnt vmcnt(4)
	v_mul_f32_e32 v39, v101, v35
	v_mul_f32_e32 v35, v100, v35
	v_fmac_f32_e32 v85, v90, v14
	v_mul_f32_e32 v14, v97, v33
	v_mul_f32_e32 v33, v96, v33
	v_fmac_f32_e32 v15, v94, v36
	v_fma_f32 v36, v95, v36, -v37
	v_fmac_f32_e32 v87, v98, v38
	v_fma_f32 v37, v99, v38, -v13
	s_waitcnt vmcnt(2) lgkmcnt(8)
	v_mul_f32_e32 v38, v107, v19
	v_mul_f32_e32 v13, v106, v19
	s_waitcnt vmcnt(1) lgkmcnt(7)
	v_mul_f32_e32 v89, v29, v123
	v_mul_f32_e32 v29, v29, v122
	v_fmac_f32_e32 v39, v100, v34
	v_fma_f32 v34, v101, v34, -v35
	s_waitcnt lgkmcnt(6)
	v_mul_f32_e32 v35, v31, v111
	v_mul_f32_e32 v31, v31, v110
	s_waitcnt vmcnt(0)
	v_mul_f32_e32 v90, v113, v23
	v_mul_f32_e32 v23, v112, v23
	s_waitcnt lgkmcnt(5)
	v_mul_f32_e32 v91, v125, v21
	v_mul_f32_e32 v21, v21, v124
	;; [unrolled: 1-line block ×6, first 2 shown]
	v_fmac_f32_e32 v14, v96, v32
	v_fma_f32 v32, v97, v32, -v33
	v_mul_f32_e32 v33, v109, v27
	v_mul_f32_e32 v27, v108, v27
	v_fmac_f32_e32 v38, v106, v18
	v_fma_f32 v94, v107, v18, -v13
	v_fmac_f32_e32 v89, v28, v122
	v_fma_f32 v13, v28, v123, -v29
	;; [unrolled: 2-line block ×8, first 2 shown]
	s_waitcnt lgkmcnt(4)
	v_add_f32_e32 v21, v115, v13
	v_add_f32_e32 v23, v89, v35
	;; [unrolled: 1-line block ×3, first 2 shown]
	v_sub_f32_e32 v96, v13, v18
	v_add_f32_e32 v13, v114, v89
	v_add_f32_e32 v25, v91, v90
	;; [unrolled: 1-line block ×7, first 2 shown]
	v_sub_f32_e32 v144, v32, v34
	s_waitcnt lgkmcnt(1)
	v_add_f32_e32 v145, v49, v32
	v_add_f32_e32 v146, v32, v34
	s_waitcnt lgkmcnt(0)
	v_add_f32_e32 v32, v7, v88
	v_add_f32_e32 v150, v16, v94
	v_sub_f32_e32 v89, v89, v35
	v_add_f32_e32 v28, v117, v20
	v_sub_f32_e32 v97, v20, v22
	;; [unrolled: 2-line block ×3, first 2 shown]
	v_add_f32_e32 v29, v118, v79
	v_add_f32_e32 v30, v121, v0
	v_sub_f32_e32 v100, v0, v2
	v_add_f32_e32 v101, v0, v2
	v_add_f32_e32 v103, v139, v81
	v_add_f32_e32 v105, v4, v83
	v_sub_f32_e32 v106, v83, v84
	v_add_f32_e32 v83, v83, v84
	v_add_f32_e32 v108, v1, v82
	v_add_f32_e32 v112, v12, v86
	v_add_f32_e32 v124, v47, v36
	v_sub_f32_e32 v125, v36, v37
	v_add_f32_e32 v36, v36, v37
	;; [unrolled: 5-line block ×3, first 2 shown]
	v_add_f32_e32 v0, v13, v35
	v_add_f32_e32 v35, v8, v16
	v_fma_f32 v13, -0.5, v23, v114
	v_fma_f32 v14, -0.5, v24, v115
	v_add_f32_e32 v114, v9, v19
	v_sub_f32_e32 v115, v88, v38
	v_add_f32_e32 v88, v17, v95
	v_add_f32_e32 v152, v19, v33
	v_sub_f32_e32 v91, v91, v90
	v_fma_f32 v116, -0.5, v25, v116
	v_fmac_f32_e32 v117, -0.5, v26
	v_sub_f32_e32 v79, v79, v92
	v_sub_f32_e32 v111, v12, v86
	v_add_f32_e32 v113, v5, v11
	v_sub_f32_e32 v123, v11, v85
	v_add_f32_e32 v11, v27, v90
	v_add_f32_e32 v90, v10, v17
	;; [unrolled: 1-line block ×3, first 2 shown]
	v_fma_f32 v31, -0.5, v31, v118
	v_fma_f32 v32, -0.5, v99, v119
	v_fma_f32 v5, -0.5, v122, v5
	v_fma_f32 v8, -0.5, v150, v8
	v_add_f32_e32 v102, v120, v139
	v_sub_f32_e32 v104, v139, v81
	v_add_f32_e32 v107, v3, v1
	v_sub_f32_e32 v109, v1, v82
	v_add_f32_e32 v110, v6, v12
	v_add_f32_e32 v139, v46, v15
	v_sub_f32_e32 v141, v15, v87
	v_add_f32_e32 v1, v21, v18
	v_sub_f32_e32 v149, v16, v94
	;; [unrolled: 2-line block ×3, first 2 shown]
	v_sub_f32_e32 v153, v19, v33
	v_add_f32_e32 v15, v29, v92
	v_add_f32_e32 v18, v30, v2
	v_add_f32_e32 v26, v145, v34
	v_add_f32_e32 v28, v35, v94
	v_add_f32_e32 v29, v114, v33
	v_fma_f32 v120, -0.5, v103, v120
	v_fmac_f32_e32 v121, -0.5, v101
	v_fma_f32 v2, -0.5, v108, v3
	v_fma_f32 v3, -0.5, v83, v4
	v_fmac_f32_e32 v6, -0.5, v112
	v_fma_f32 v33, -0.5, v140, v46
	v_fma_f32 v34, -0.5, v36, v47
	;; [unrolled: 1-line block ×3, first 2 shown]
	v_fmac_f32_e32 v49, -0.5, v146
	v_fma_f32 v7, -0.5, v148, v7
	v_fma_f32 v9, -0.5, v152, v9
	v_fmac_f32_e32 v10, -0.5, v88
	v_fmamk_f32 v35, v96, 0xbf5db3d7, v13
	v_fmamk_f32 v36, v89, 0x3f5db3d7, v14
	v_fmac_f32_e32 v13, 0x3f5db3d7, v96
	v_fmac_f32_e32 v14, 0xbf5db3d7, v89
	v_add_f32_e32 v24, v124, v37
	v_fmamk_f32 v37, v97, 0xbf5db3d7, v116
	v_fmamk_f32 v38, v91, 0x3f5db3d7, v117
	v_fmac_f32_e32 v116, 0x3f5db3d7, v97
	v_fmac_f32_e32 v117, 0xbf5db3d7, v91
	v_add_f32_e32 v16, v20, v80
	v_add_f32_e32 v30, v90, v95
	v_fmamk_f32 v46, v98, 0xbf5db3d7, v31
	v_fmamk_f32 v47, v79, 0x3f5db3d7, v32
	;; [unrolled: 1-line block ×4, first 2 shown]
	v_fmac_f32_e32 v8, 0xbf5db3d7, v115
	s_barrier
	buffer_gl0_inv
	v_add_f32_e32 v17, v102, v81
	v_add_f32_e32 v20, v105, v84
	;; [unrolled: 1-line block ×7, first 2 shown]
	v_fmac_f32_e32 v31, 0x3f5db3d7, v98
	v_fmac_f32_e32 v32, 0xbf5db3d7, v79
	v_fmamk_f32 v79, v100, 0xbf5db3d7, v120
	v_fmamk_f32 v80, v104, 0x3f5db3d7, v121
	v_fmac_f32_e32 v120, 0x3f5db3d7, v100
	v_fmac_f32_e32 v121, 0xbf5db3d7, v104
	v_fmamk_f32 v81, v106, 0xbf5db3d7, v2
	v_fmamk_f32 v82, v109, 0x3f5db3d7, v3
	v_fmac_f32_e32 v2, 0x3f5db3d7, v106
	v_fmac_f32_e32 v3, 0xbf5db3d7, v109
	v_fmamk_f32 v84, v123, 0x3f5db3d7, v6
	v_fmac_f32_e32 v5, 0x3f5db3d7, v111
	v_fmac_f32_e32 v6, 0xbf5db3d7, v123
	v_fmamk_f32 v85, v125, 0xbf5db3d7, v33
	v_fmamk_f32 v86, v141, 0x3f5db3d7, v34
	v_fmac_f32_e32 v33, 0x3f5db3d7, v125
	v_fmac_f32_e32 v34, 0xbf5db3d7, v141
	v_fmamk_f32 v87, v144, 0xbf5db3d7, v48
	v_fmac_f32_e32 v48, 0x3f5db3d7, v144
	v_fmamk_f32 v88, v147, 0x3f5db3d7, v49
	v_fmac_f32_e32 v49, 0xbf5db3d7, v147
	v_fmamk_f32 v89, v149, 0xbf5db3d7, v7
	v_fmac_f32_e32 v7, 0x3f5db3d7, v149
	v_fmamk_f32 v91, v151, 0xbf5db3d7, v9
	v_fmac_f32_e32 v9, 0x3f5db3d7, v151
	v_fmamk_f32 v92, v153, 0x3f5db3d7, v10
	v_fmac_f32_e32 v10, 0xbf5db3d7, v153
	ds_write2_b64 v128, v[0:1], v[35:36] offset1:30
	ds_write_b64 v128, v[13:14] offset:480
	ds_write2_b64 v137, v[11:12], v[37:38] offset1:30
	ds_write_b64 v137, v[116:117] offset:480
	;; [unrolled: 2-line block ×10, first 2 shown]
	v_mul_lo_u16 v8, 0x5a, v78
	v_lshrrev_b32_e32 v83, 20, v126
	v_mul_u32_u24_sdwa v9, v68, v93 dst_sel:DWORD dst_unused:UNUSED_PAD src0_sel:WORD_0 src1_sel:DWORD
	v_mul_u32_u24_sdwa v18, v67, v93 dst_sel:DWORD dst_unused:UNUSED_PAD src0_sel:WORD_0 src1_sel:DWORD
	;; [unrolled: 1-line block ×3, first 2 shown]
	v_sub_nc_u16 v79, v63, v8
	v_mul_lo_u16 v8, 0x5a, v83
	v_lshrrev_b32_e32 v85, 20, v9
	s_waitcnt lgkmcnt(0)
	s_barrier
	buffer_gl0_inv
	v_sub_nc_u16 v81, v66, v8
	v_mul_u32_u24_sdwa v8, v69, v93 dst_sel:DWORD dst_unused:UNUSED_PAD src0_sel:WORD_0 src1_sel:DWORD
	v_mul_lo_u16 v16, 0x5a, v85
	global_load_dwordx4 v[4:7], v136, s[12:13] offset:640
	v_lshrrev_b32_e32 v89, 20, v17
	global_load_dwordx4 v[0:3], v127, s[12:13] offset:640
	v_lshrrev_b32_e32 v86, 20, v8
	v_sub_nc_u16 v82, v68, v16
	v_lshlrev_b32_sdwa v10, v71, v79 dst_sel:DWORD dst_unused:UNUSED_PAD src0_sel:DWORD src1_sel:WORD_0
	v_add_nc_u32_e32 v26, -9, v40
	v_mul_lo_u16 v24, 0x5a, v89
	v_mul_lo_u16 v16, 0x5a, v86
	v_mov_b32_e32 v47, 0
	v_lshlrev_b32_e32 v46, 1, v40
	global_load_dwordx4 v[12:15], v10, s[12:13] offset:640
	v_lshlrev_b32_sdwa v9, v71, v81 dst_sel:DWORD dst_unused:UNUSED_PAD src0_sel:DWORD src1_sel:WORD_0
	v_sub_nc_u16 v84, v69, v16
	v_lshrrev_b32_e32 v16, 20, v18
	v_lshlrev_b32_sdwa v19, v71, v82 dst_sel:DWORD dst_unused:UNUSED_PAD src0_sel:DWORD src1_sel:WORD_0
	v_cndmask_b32_e64 v90, v26, v70, s0
	v_sub_nc_u16 v88, v64, v24
	v_lshlrev_b32_sdwa v17, v71, v84 dst_sel:DWORD dst_unused:UNUSED_PAD src0_sel:DWORD src1_sel:WORD_0
	v_mul_lo_u16 v25, 0x5a, v16
	s_clause 0x1
	global_load_dwordx4 v[20:23], v19, s[12:13] offset:640
	global_load_dwordx4 v[8:11], v9, s[12:13] offset:640
	v_mov_b32_e32 v27, v47
	global_load_dwordx4 v[16:19], v17, s[12:13] offset:640
	v_sub_nc_u16 v25, v67, v25
	v_lshlrev_b32_e32 v26, 1, v90
	v_lshlrev_b32_sdwa v28, v71, v88 dst_sel:DWORD dst_unused:UNUSED_PAD src0_sel:DWORD src1_sel:WORD_0
	v_mov_b32_e32 v122, 0x795d
	v_subrev_nc_u32_e32 v80, 27, v40
	v_and_b32_e32 v87, 0xffff, v25
	v_lshlrev_b64 v[24:25], 3, v[46:47]
	global_load_dwordx4 v[36:39], v28, s[12:13] offset:640
	v_lshlrev_b32_e32 v92, 1, v72
	v_mov_b32_e32 v93, v47
	v_lshlrev_b32_e32 v29, 4, v87
	v_add_nc_u32_e32 v94, 0x6c, v46
	v_add_co_u32 v48, s0, s12, v24
	v_add_co_ci_u32_e64 v49, s0, s13, v25, s0
	v_lshlrev_b64 v[24:25], 3, v[26:27]
	s_clause 0x1
	global_load_dwordx4 v[32:35], v29, s[12:13] offset:640
	global_load_dwordx4 v[28:31], v[48:49], off offset:640
	v_add_nc_u32_e32 v46, 0x10e, v46
	v_mul_u32_u24_sdwa v72, v68, v122 dst_sel:DWORD dst_unused:UNUSED_PAD src0_sel:WORD_0 src1_sel:DWORD
	v_mul_u32_u24_sdwa v102, v69, v122 dst_sel:DWORD dst_unused:UNUSED_PAD src0_sel:WORD_0 src1_sel:DWORD
	v_add_co_u32 v24, s0, s12, v24
	v_add_co_ci_u32_e64 v25, s0, s13, v25, s0
	v_cmp_lt_u32_e64 s0, 8, v40
	v_mov_b32_e32 v95, v47
	v_lshlrev_b64 v[92:93], 3, v[92:93]
	global_load_dwordx4 v[24:27], v[24:25], off offset:640
	v_lshlrev_b64 v[99:100], 3, v[46:47]
	v_cndmask_b32_e64 v91, 0, 0x870, s0
	v_cmp_gt_u32_e64 s0, 27, v40
	v_lshrrev_b32_e32 v46, 23, v72
	v_lshrrev_b32_e32 v72, 23, v102
	v_lshlrev_b64 v[97:98], 3, v[94:95]
	v_mov_b32_e32 v96, v47
	v_cndmask_b32_e64 v80, v80, v65, s0
	v_lshlrev_b32_e32 v90, 3, v90
	v_mul_lo_u16 v124, 0x10e, v72
	v_add_co_u32 v72, s0, s12, v92
	v_lshlrev_b32_e32 v95, 1, v80
	v_mul_u32_u24_e32 v94, 0x870, v77
	v_add_co_ci_u32_e64 v77, s0, s13, v93, s0
	v_add3_u32 v123, 0, v91, v90
	v_lshlrev_b64 v[90:91], 3, v[95:96]
	v_mul_u32_u24_e32 v96, 0x870, v83
	v_add_co_u32 v83, s0, s12, v97
	v_mov_b32_e32 v101, 0x870
	v_mul_u32_u24_e32 v95, 0x870, v78
	v_mul_lo_u16 v78, 0x10e, v46
	v_mul_u32_u24_e32 v103, 0x870, v86
	v_add_co_ci_u32_e64 v86, s0, s13, v98, s0
	v_add_co_u32 v125, s0, s12, v99
	v_add_co_ci_u32_e64 v126, s0, s13, v100, s0
	v_mul_u32_u24_sdwa v92, v76, v101 dst_sel:DWORD dst_unused:UNUSED_PAD src0_sel:WORD_0 src1_sel:DWORD
	v_sub_nc_u16 v76, v68, v78
	v_add_co_u32 v78, s0, s12, v90
	v_mul_u32_u24_e32 v104, 0x870, v89
	v_add_co_ci_u32_e64 v89, s0, s13, v91, s0
	v_mul_u32_u24_e32 v102, 0x870, v85
	v_add_co_u32 v85, s0, 0x800, v83
	v_add_co_ci_u32_e64 v86, s0, 0, v86, s0
	v_add_co_u32 v120, s0, 0x800, v72
	v_add_co_ci_u32_e64 v121, s0, 0, v77, s0
	v_add_co_u32 v78, s0, 0x800, v78
	v_lshlrev_b32_sdwa v93, v73, v79 dst_sel:DWORD dst_unused:UNUSED_PAD src0_sel:DWORD src1_sel:WORD_0
	v_lshlrev_b32_sdwa v100, v73, v88 dst_sel:DWORD dst_unused:UNUSED_PAD src0_sel:DWORD src1_sel:WORD_0
	v_add_co_ci_u32_e64 v79, s0, 0, v89, s0
	ds_read2_b64 v[88:91], v61 offset0:118 offset1:199
	v_lshlrev_b32_sdwa v97, v73, v81 dst_sel:DWORD dst_unused:UNUSED_PAD src0_sel:DWORD src1_sel:WORD_0
	v_lshlrev_b32_sdwa v98, v73, v82 dst_sel:DWORD dst_unused:UNUSED_PAD src0_sel:DWORD src1_sel:WORD_0
	;; [unrolled: 1-line block ×3, first 2 shown]
	ds_read2_b64 v[81:84], v53 offset0:76 offset1:157
	v_add3_u32 v127, 0, v94, v75
	v_add3_u32 v128, 0, v95, v93
	;; [unrolled: 1-line block ×7, first 2 shown]
	ds_read2_b64 v[92:95], v56 offset0:110 offset1:191
	ds_read2_b64 v[96:99], v52 offset0:152 offset1:233
	;; [unrolled: 1-line block ×6, first 2 shown]
	ds_read_b64 v[74:75], v50 offset:6480
	ds_read2_b64 v[116:119], v57 offset0:84 offset1:165
	v_lshl_add_u32 v130, v87, 3, 0
	v_lshlrev_b32_e32 v80, 3, v80
	v_lshlrev_b32_sdwa v73, v73, v76 dst_sel:DWORD dst_unused:UNUSED_PAD src0_sel:DWORD src1_sel:WORD_0
	v_add_nc_u32_e32 v135, 0x4000, v130
	s_waitcnt vmcnt(9) lgkmcnt(9)
	v_mul_f32_e32 v137, v89, v7
	v_mul_f32_e32 v7, v88, v7
	s_waitcnt vmcnt(8) lgkmcnt(8)
	v_mul_f32_e32 v138, v84, v1
	v_mul_f32_e32 v1, v83, v1
	;; [unrolled: 1-line block ×3, first 2 shown]
	v_fmac_f32_e32 v137, v88, v6
	v_fma_f32 v89, v89, v6, -v7
	v_mul_f32_e32 v7, v90, v3
	v_fmac_f32_e32 v138, v83, v0
	v_fma_f32 v0, v84, v0, -v1
	v_fmac_f32_e32 v140, v90, v2
	s_waitcnt vmcnt(7) lgkmcnt(7)
	v_mul_f32_e32 v1, v93, v13
	v_fma_f32 v2, v91, v2, -v7
	v_mul_f32_e32 v7, v92, v13
	s_waitcnt lgkmcnt(6)
	v_mul_f32_e32 v90, v97, v15
	ds_read2_b32 v[87:88], v59 offset0:246 offset1:247
	v_mul_f32_e32 v13, v96, v15
	v_fmac_f32_e32 v1, v92, v12
	v_fma_f32 v92, v93, v12, -v7
	v_fmac_f32_e32 v90, v96, v14
	v_mul_f32_e32 v136, v82, v5
	s_waitcnt vmcnt(5)
	v_mul_f32_e32 v91, v95, v9
	v_mul_f32_e32 v9, v94, v9
	v_mul_f32_e32 v96, v99, v11
	v_mul_f32_e32 v7, v98, v11
	v_mul_f32_e32 v5, v81, v5
	v_fmac_f32_e32 v136, v81, v4
	v_fma_f32 v11, v95, v8, -v9
	v_fmac_f32_e32 v96, v98, v10
	v_fma_f32 v95, v99, v10, -v7
	s_waitcnt lgkmcnt(6)
	v_mul_f32_e32 v7, v100, v21
	s_waitcnt vmcnt(4)
	v_mul_f32_e32 v98, v103, v17
	v_mul_f32_e32 v17, v102, v17
	v_fma_f32 v139, v82, v4, -v5
	ds_read2_b64 v[3:6], v50 offset1:81
	v_fma_f32 v93, v97, v14, -v13
	ds_read2_b64 v[12:15], v50 offset0:162 offset1:243
	v_fmac_f32_e32 v91, v94, v8
	ds_read2_b64 v[81:84], v62 offset0:68 offset1:149
	v_mul_f32_e32 v94, v101, v21
	s_waitcnt lgkmcnt(8)
	v_mul_f32_e32 v97, v105, v23
	v_mul_f32_e32 v8, v104, v23
	v_fma_f32 v99, v101, v20, -v7
	v_fmac_f32_e32 v98, v102, v16
	v_fma_f32 v101, v103, v16, -v17
	v_mul_f32_e32 v102, v107, v19
	v_mul_f32_e32 v16, v106, v19
	v_fmac_f32_e32 v94, v100, v20
	v_fmac_f32_e32 v97, v104, v22
	v_fma_f32 v100, v105, v22, -v8
	ds_read2_b64 v[7:10], v41 offset0:102 offset1:183
	ds_read2_b64 v[20:23], v54 offset0:136 offset1:217
	s_waitcnt vmcnt(3) lgkmcnt(9)
	v_mul_f32_e32 v103, v109, v37
	v_fmac_f32_e32 v102, v106, v18
	v_fma_f32 v104, v107, v18, -v16
	v_mul_f32_e32 v16, v108, v37
	s_waitcnt lgkmcnt(8)
	v_mul_f32_e32 v37, v113, v39
	v_mul_f32_e32 v17, v112, v39
	s_waitcnt vmcnt(2)
	v_mul_f32_e32 v39, v111, v33
	v_mul_f32_e32 v18, v110, v33
	;; [unrolled: 1-line block ×4, first 2 shown]
	s_waitcnt vmcnt(1) lgkmcnt(7)
	v_mul_f32_e32 v33, v29, v75
	v_fmac_f32_e32 v103, v108, v36
	v_fma_f32 v35, v109, v36, -v16
	v_fma_f32 v36, v113, v38, -v17
	v_mul_f32_e32 v16, v29, v74
	s_waitcnt lgkmcnt(6)
	v_mul_f32_e32 v17, v31, v117
	v_mul_f32_e32 v29, v31, v116
	s_waitcnt vmcnt(0)
	v_mul_f32_e32 v31, v119, v27
	v_fmac_f32_e32 v39, v110, v32
	v_fma_f32 v32, v111, v32, -v18
	v_mul_f32_e32 v18, v118, v27
	s_waitcnt lgkmcnt(5)
	v_mul_f32_e32 v27, v88, v25
	v_mul_f32_e32 v25, v25, v87
	v_fmac_f32_e32 v37, v112, v38
	v_fma_f32 v38, v115, v34, -v19
	v_fmac_f32_e32 v33, v28, v74
	v_fma_f32 v16, v28, v75, -v16
	;; [unrolled: 2-line block ×5, first 2 shown]
	v_fmac_f32_e32 v105, v114, v34
	s_waitcnt lgkmcnt(4)
	v_add_f32_e32 v25, v4, v16
	v_add_f32_e32 v30, v33, v17
	;; [unrolled: 1-line block ×3, first 2 shown]
	v_sub_f32_e32 v87, v16, v19
	v_add_f32_e32 v16, v3, v33
	v_sub_f32_e32 v88, v33, v17
	v_add_f32_e32 v26, v6, v24
	v_sub_f32_e32 v106, v24, v18
	v_add_f32_e32 v33, v24, v18
	v_add_f32_e32 v24, v5, v27
	v_add_f32_e32 v74, v27, v31
	v_sub_f32_e32 v107, v27, v31
	v_add_f32_e32 v75, v136, v137
	v_add_f32_e32 v108, v139, v89
	s_waitcnt lgkmcnt(3)
	v_add_f32_e32 v27, v13, v139
	v_add_f32_e32 v28, v12, v136
	v_sub_f32_e32 v109, v139, v89
	v_add_f32_e32 v29, v15, v0
	v_add_f32_e32 v113, v14, v138
	;; [unrolled: 1-line block ×3, first 2 shown]
	v_sub_f32_e32 v115, v138, v140
	s_waitcnt lgkmcnt(2)
	v_add_f32_e32 v116, v82, v92
	v_add_f32_e32 v118, v81, v1
	;; [unrolled: 1-line block ×3, first 2 shown]
	v_sub_f32_e32 v139, v11, v95
	v_add_f32_e32 v141, v11, v95
	v_add_f32_e32 v11, v83, v91
	v_add_f32_e32 v146, v94, v97
	v_sub_f32_e32 v110, v136, v137
	v_sub_f32_e32 v111, v0, v2
	v_add_f32_e32 v112, v0, v2
	v_sub_f32_e32 v117, v92, v93
	v_add_f32_e32 v92, v92, v93
	v_add_f32_e32 v119, v1, v90
	v_sub_f32_e32 v136, v1, v90
	v_add_f32_e32 v142, v91, v96
	v_sub_f32_e32 v143, v91, v96
	s_waitcnt lgkmcnt(1)
	v_add_f32_e32 v91, v8, v99
	v_add_f32_e32 v1, v25, v19
	;; [unrolled: 1-line block ×3, first 2 shown]
	v_sub_f32_e32 v144, v99, v100
	v_add_f32_e32 v99, v99, v100
	v_add_f32_e32 v145, v7, v94
	;; [unrolled: 1-line block ×4, first 2 shown]
	v_sub_f32_e32 v147, v94, v97
	v_add_f32_e32 v94, v10, v101
	v_add_f32_e32 v19, v27, v89
	;; [unrolled: 1-line block ×3, first 2 shown]
	v_sub_f32_e32 v137, v101, v104
	v_add_f32_e32 v89, v101, v104
	v_add_f32_e32 v101, v9, v98
	;; [unrolled: 1-line block ×5, first 2 shown]
	v_sub_f32_e32 v140, v98, v102
	s_waitcnt lgkmcnt(0)
	v_add_f32_e32 v98, v21, v35
	v_add_f32_e32 v27, v116, v93
	;; [unrolled: 1-line block ×8, first 2 shown]
	v_fma_f32 v2, -0.5, v30, v3
	v_fma_f32 v3, -0.5, v34, v4
	v_add_f32_e32 v4, v23, v32
	v_fma_f32 v5, -0.5, v74, v5
	v_add_f32_e32 v74, v22, v39
	;; [unrolled: 2-line block ×3, first 2 shown]
	v_add_f32_e32 v96, v39, v105
	v_fmac_f32_e32 v6, -0.5, v33
	v_fma_f32 v12, -0.5, v108, v13
	v_fma_f32 v7, -0.5, v146, v7
	v_sub_f32_e32 v116, v35, v36
	v_sub_f32_e32 v103, v103, v37
	;; [unrolled: 1-line block ×3, first 2 shown]
	v_fma_f32 v14, -0.5, v114, v14
	v_sub_f32_e32 v108, v39, v105
	v_fmac_f32_e32 v15, -0.5, v112
	v_add_f32_e32 v35, v98, v36
	v_add_f32_e32 v34, v93, v37
	;; [unrolled: 1-line block ×4, first 2 shown]
	v_fma_f32 v38, -0.5, v119, v81
	v_fma_f32 v39, -0.5, v92, v82
	;; [unrolled: 1-line block ×3, first 2 shown]
	v_fmac_f32_e32 v84, -0.5, v141
	v_fma_f32 v8, -0.5, v99, v8
	v_fma_f32 v9, -0.5, v113, v9
	v_fmac_f32_e32 v10, -0.5, v89
	v_fma_f32 v20, -0.5, v95, v20
	v_fma_f32 v21, -0.5, v90, v21
	;; [unrolled: 1-line block ×3, first 2 shown]
	v_fmac_f32_e32 v23, -0.5, v75
	v_fmamk_f32 v74, v87, 0xbf5db3d7, v2
	v_fmamk_f32 v75, v88, 0x3f5db3d7, v3
	v_fmac_f32_e32 v2, 0x3f5db3d7, v87
	v_fmac_f32_e32 v3, 0xbf5db3d7, v88
	v_fmamk_f32 v81, v106, 0xbf5db3d7, v5
	v_fmamk_f32 v82, v107, 0x3f5db3d7, v6
	v_fmac_f32_e32 v5, 0x3f5db3d7, v106
	v_fmac_f32_e32 v6, 0xbf5db3d7, v107
	v_fmamk_f32 v87, v109, 0xbf5db3d7, v11
	v_fmamk_f32 v88, v110, 0x3f5db3d7, v12
	;; [unrolled: 1-line block ×3, first 2 shown]
	v_fmac_f32_e32 v7, 0x3f5db3d7, v144
	s_barrier
	buffer_gl0_inv
	v_add_f32_e32 v31, v91, v100
	v_add_f32_e32 v30, v145, v97
	;; [unrolled: 1-line block ×4, first 2 shown]
	v_fmac_f32_e32 v11, 0x3f5db3d7, v109
	v_fmac_f32_e32 v12, 0xbf5db3d7, v110
	v_fmamk_f32 v89, v111, 0xbf5db3d7, v14
	v_fmamk_f32 v90, v115, 0x3f5db3d7, v15
	v_fmac_f32_e32 v14, 0x3f5db3d7, v111
	v_fmac_f32_e32 v15, 0xbf5db3d7, v115
	v_fmamk_f32 v91, v117, 0xbf5db3d7, v38
	v_fmamk_f32 v92, v136, 0x3f5db3d7, v39
	;; [unrolled: 4-line block ×3, first 2 shown]
	v_fmac_f32_e32 v83, 0x3f5db3d7, v139
	v_fmac_f32_e32 v84, 0xbf5db3d7, v143
	v_fmamk_f32 v96, v147, 0x3f5db3d7, v8
	v_fmac_f32_e32 v8, 0xbf5db3d7, v147
	v_fmamk_f32 v97, v137, 0xbf5db3d7, v9
	;; [unrolled: 2-line block ×7, first 2 shown]
	v_fmac_f32_e32 v23, 0xbf5db3d7, v108
	ds_write2_b64 v50, v[0:1], v[74:75] offset1:90
	ds_write_b64 v50, v[2:3] offset:1440
	ds_write2_b64 v123, v[16:17], v[81:82] offset1:90
	ds_write_b64 v123, v[5:6] offset:1440
	;; [unrolled: 2-line block ×9, first 2 shown]
	ds_write2_b64 v135, v[36:37], v[101:102] offset0:112 offset1:202
	ds_write_b64 v130, v[22:23] offset:18720
	v_sub_nc_u16 v6, v69, v124
	v_mul_u32_u24_sdwa v7, v64, v122 dst_sel:DWORD dst_unused:UNUSED_PAD src0_sel:WORD_0 src1_sel:DWORD
	v_lshlrev_b32_sdwa v12, v71, v76 dst_sel:DWORD dst_unused:UNUSED_PAD src0_sel:DWORD src1_sel:WORD_0
	v_add_co_u32 v4, s0, 0x800, v125
	v_add_co_ci_u32_e64 v5, s0, 0, v126, s0
	v_and_b32_e32 v74, 0xffff, v6
	v_lshrrev_b32_e32 v6, 23, v7
	v_add_co_u32 v7, s0, s12, v12
	v_add_co_ci_u32_e64 v12, null, s13, 0, s0
	v_mul_u32_u24_sdwa v13, v67, v122 dst_sel:DWORD dst_unused:UNUSED_PAD src0_sel:WORD_0 src1_sel:DWORD
	v_mul_lo_u16 v15, 0x10e, v6
	v_add_co_u32 v6, s0, 0x800, v7
	v_add_co_ci_u32_e64 v7, s0, 0, v12, s0
	v_lshrrev_b32_e32 v12, 23, v13
	v_lshlrev_b32_e32 v14, 4, v74
	v_sub_nc_u16 v13, v64, v15
	s_waitcnt lgkmcnt(0)
	s_barrier
	v_mul_lo_u16 v12, 0x10e, v12
	v_add_co_u32 v14, s0, s12, v14
	v_and_b32_e32 v75, 0xffff, v13
	v_add_co_ci_u32_e64 v15, null, s13, 0, s0
	v_sub_nc_u16 v26, v67, v12
	v_add_co_u32 v24, s0, 0x800, v14
	v_lshlrev_b32_e32 v27, 4, v75
	v_add_co_ci_u32_e64 v25, s0, 0, v15, s0
	buffer_gl0_inv
	s_clause 0x1
	global_load_dwordx4 v[8:11], v[120:121], off offset:32
	global_load_dwordx4 v[0:3], v[78:79], off offset:32
	v_and_b32_e32 v78, 0xffff, v26
	s_clause 0x3
	global_load_dwordx4 v[20:23], v[85:86], off offset:32
	global_load_dwordx4 v[16:19], v[4:5], off offset:32
	global_load_dwordx4 v[12:15], v[6:7], off offset:32
	global_load_dwordx4 v[4:7], v[24:25], off offset:32
	v_add_co_u32 v24, s0, s12, v27
	v_add_co_ci_u32_e64 v25, null, s13, 0, s0
	v_lshlrev_b32_e32 v26, 4, v78
	v_add_co_u32 v24, s0, 0x800, v24
	v_add_co_ci_u32_e64 v25, s0, 0, v25, s0
	v_add_co_u32 v28, s0, s12, v26
	v_add_co_ci_u32_e64 v29, null, s13, 0, s0
	v_lshlrev_b32_e32 v26, 1, v70
	v_mov_b32_e32 v27, v47
	v_add_co_u32 v32, s0, 0x800, v28
	v_add_co_ci_u32_e64 v33, s0, 0, v29, s0
	v_lshlrev_b64 v[34:35], 3, v[26:27]
	s_clause 0x1
	global_load_dwordx4 v[28:31], v[24:25], off offset:32
	global_load_dwordx4 v[24:27], v[32:33], off offset:32
	v_add_co_u32 v32, s0, 0x800, v48
	v_add_co_ci_u32_e64 v33, s0, 0, v49, s0
	v_add_co_u32 v70, s0, s12, v34
	v_add_co_ci_u32_e64 v71, s0, s13, v35, s0
	global_load_dwordx4 v[36:39], v[32:33], off offset:32
	v_add_co_u32 v32, s0, 0x800, v70
	v_add_co_ci_u32_e64 v33, s0, 0, v71, s0
	v_cmp_lt_u32_e64 s0, 26, v40
	v_mul_u32_u24_e32 v81, 0x1950, v46
	v_lshlrev_b32_e32 v46, 1, v65
	global_load_dwordx4 v[32:35], v[32:33], off offset:32
	ds_read2_b64 v[83:86], v61 offset0:118 offset1:199
	v_cndmask_b32_e64 v79, 0, 0x1950, s0
	v_add3_u32 v136, 0, v81, v73
	v_lshl_add_u32 v139, v78, 3, 0
	v_lshl_add_u32 v137, v74, 3, 0
	;; [unrolled: 1-line block ×3, first 2 shown]
	v_add3_u32 v65, 0, v79, v80
	ds_read2_b64 v[79:82], v53 offset0:76 offset1:157
	ds_read2_b64 v[73:76], v56 offset0:110 offset1:191
	;; [unrolled: 1-line block ×7, first 2 shown]
	ds_read_b64 v[131:132], v50 offset:6480
	ds_read2_b64 v[107:110], v57 offset0:84 offset1:165
	ds_read2_b32 v[133:134], v59 offset0:246 offset1:247
	ds_read2_b64 v[111:114], v50 offset1:81
	ds_read2_b64 v[115:118], v50 offset0:162 offset1:243
	ds_read2_b64 v[119:122], v62 offset0:68 offset1:149
	;; [unrolled: 1-line block ×4, first 2 shown]
	v_add_nc_u32_e32 v135, 0x400, v50
	s_waitcnt vmcnt(0) lgkmcnt(0)
	s_barrier
	buffer_gl0_inv
	v_mul_f32_e32 v78, v80, v9
	v_mul_f32_e32 v9, v79, v9
	;; [unrolled: 1-line block ×4, first 2 shown]
	v_fmac_f32_e32 v78, v79, v8
	v_fma_f32 v8, v80, v8, -v9
	v_fmac_f32_e32 v140, v83, v10
	v_fma_f32 v9, v84, v10, -v11
	v_mul_f32_e32 v10, v82, v1
	v_mul_f32_e32 v1, v81, v1
	;; [unrolled: 1-line block ×5, first 2 shown]
	v_fmac_f32_e32 v10, v81, v0
	v_fma_f32 v0, v82, v0, -v1
	v_mul_f32_e32 v1, v74, v21
	v_mul_f32_e32 v21, v73, v21
	;; [unrolled: 1-line block ×3, first 2 shown]
	v_fmac_f32_e32 v11, v85, v2
	v_fma_f32 v80, v86, v2, -v3
	v_mul_f32_e32 v2, v76, v17
	v_mul_f32_e32 v3, v75, v17
	;; [unrolled: 1-line block ×8, first 2 shown]
	v_fmac_f32_e32 v1, v73, v20
	v_fma_f32 v20, v74, v20, -v21
	v_fma_f32 v21, v88, v22, -v23
	v_mul_f32_e32 v23, v98, v7
	v_mul_f32_e32 v7, v97, v7
	v_fmac_f32_e32 v2, v75, v16
	v_fma_f32 v3, v76, v16, -v3
	v_fmac_f32_e32 v17, v89, v18
	v_fma_f32 v18, v90, v18, -v19
	v_mul_f32_e32 v19, v102, v25
	v_mul_f32_e32 v25, v101, v25
	;; [unrolled: 1-line block ×8, first 2 shown]
	v_fmac_f32_e32 v81, v91, v12
	v_fma_f32 v12, v92, v12, -v13
	v_fmac_f32_e32 v82, v95, v14
	v_fma_f32 v14, v96, v14, -v15
	v_mul_f32_e32 v13, v110, v35
	v_mul_f32_e32 v15, v109, v35
	;; [unrolled: 1-line block ×4, first 2 shown]
	v_fmac_f32_e32 v79, v87, v22
	v_mul_f32_e32 v22, v94, v5
	v_mul_f32_e32 v5, v93, v5
	;; [unrolled: 1-line block ×6, first 2 shown]
	v_fmac_f32_e32 v23, v97, v6
	v_fma_f32 v83, v98, v6, -v7
	v_fma_f32 v6, v102, v24, -v25
	v_fmac_f32_e32 v75, v36, v131
	v_fma_f32 v7, v36, v132, -v37
	v_fmac_f32_e32 v76, v38, v107
	;; [unrolled: 2-line block ×3, first 2 shown]
	v_fmac_f32_e32 v74, v105, v26
	v_fma_f32 v24, v106, v26, -v27
	v_fmac_f32_e32 v13, v109, v34
	v_fma_f32 v15, v110, v34, -v15
	;; [unrolled: 2-line block ×4, first 2 shown]
	v_fma_f32 v5, v100, v28, -v29
	v_fmac_f32_e32 v16, v99, v28
	v_fmac_f32_e32 v73, v103, v30
	v_fma_f32 v28, v104, v30, -v31
	v_add_f32_e32 v27, v75, v76
	v_add_f32_e32 v29, v7, v25
	;; [unrolled: 1-line block ×4, first 2 shown]
	v_sub_f32_e32 v32, v7, v25
	v_sub_f32_e32 v33, v75, v76
	v_add_f32_e32 v34, v111, v75
	v_add_f32_e32 v7, v112, v7
	;; [unrolled: 1-line block ×5, first 2 shown]
	v_sub_f32_e32 v85, v26, v15
	v_add_f32_e32 v26, v78, v140
	v_add_f32_e32 v109, v125, v22
	;; [unrolled: 1-line block ×3, first 2 shown]
	v_sub_f32_e32 v131, v22, v23
	v_add_f32_e32 v22, v128, v5
	v_add_f32_e32 v86, v0, v80
	;; [unrolled: 1-line block ×5, first 2 shown]
	v_sub_f32_e32 v39, v8, v9
	v_add_f32_e32 v8, v118, v0
	v_sub_f32_e32 v87, v0, v80
	v_add_f32_e32 v88, v117, v10
	;; [unrolled: 2-line block ×3, first 2 shown]
	v_add_f32_e32 v91, v20, v21
	v_sub_f32_e32 v92, v20, v21
	v_add_f32_e32 v20, v119, v1
	v_add_f32_e32 v93, v1, v79
	v_sub_f32_e32 v94, v1, v79
	v_add_f32_e32 v96, v3, v18
	v_add_f32_e32 v99, v2, v17
	;; [unrolled: 1-line block ×10, first 2 shown]
	v_fma_f32 v0, -0.5, v27, v111
	v_fma_f32 v1, -0.5, v29, v112
	v_sub_f32_e32 v35, v35, v13
	v_fma_f32 v113, -0.5, v36, v113
	v_fmac_f32_e32 v114, -0.5, v84
	v_sub_f32_e32 v78, v78, v140
	v_add_f32_e32 v106, v126, v4
	v_sub_f32_e32 v107, v4, v83
	v_sub_f32_e32 v132, v5, v28
	v_add_f32_e32 v134, v127, v16
	v_sub_f32_e32 v142, v16, v73
	;; [unrolled: 3-line block ×3, first 2 shown]
	v_add_f32_e32 v4, v34, v76
	v_add_f32_e32 v5, v7, v25
	v_add_f32_e32 v6, v37, v13
	v_add_f32_e32 v7, v38, v15
	v_add_f32_e32 v16, v109, v23
	v_add_f32_e32 v19, v22, v28
	v_fma_f32 v22, -0.5, v26, v115
	v_fma_f32 v23, -0.5, v75, v116
	;; [unrolled: 1-line block ×3, first 2 shown]
	v_fmac_f32_e32 v118, -0.5, v86
	v_add_f32_e32 v95, v122, v3
	v_sub_f32_e32 v97, v3, v18
	v_add_f32_e32 v98, v121, v2
	v_sub_f32_e32 v100, v2, v17
	;; [unrolled: 2-line block ×4, first 2 shown]
	v_add_f32_e32 v2, v30, v140
	v_add_f32_e32 v3, v31, v9
	;; [unrolled: 1-line block ×6, first 2 shown]
	v_fma_f32 v24, -0.5, v93, v119
	v_fma_f32 v25, -0.5, v91, v120
	v_fma_f32 v121, -0.5, v99, v121
	v_fmac_f32_e32 v122, -0.5, v96
	v_fma_f32 v26, -0.5, v105, v123
	v_fma_f32 v27, -0.5, v103, v124
	v_fma_f32 v125, -0.5, v110, v125
	v_fmac_f32_e32 v126, -0.5, v108
	;; [unrolled: 4-line block ×3, first 2 shown]
	v_fmamk_f32 v30, v32, 0xbf5db3d7, v0
	v_fmamk_f32 v31, v33, 0x3f5db3d7, v1
	v_fmac_f32_e32 v0, 0x3f5db3d7, v32
	v_fmac_f32_e32 v1, 0xbf5db3d7, v33
	v_fmamk_f32 v32, v85, 0xbf5db3d7, v113
	v_fmac_f32_e32 v113, 0x3f5db3d7, v85
	v_fmamk_f32 v33, v35, 0x3f5db3d7, v114
	v_fmac_f32_e32 v114, 0xbf5db3d7, v35
	ds_write2_b64 v50, v[4:5], v[6:7] offset1:81
	v_fmamk_f32 v4, v39, 0xbf5db3d7, v22
	v_fmamk_f32 v5, v78, 0x3f5db3d7, v23
	v_fmac_f32_e32 v22, 0x3f5db3d7, v39
	v_fmac_f32_e32 v23, 0xbf5db3d7, v78
	v_fmamk_f32 v6, v87, 0xbf5db3d7, v117
	v_fmac_f32_e32 v117, 0x3f5db3d7, v87
	v_fmamk_f32 v7, v90, 0x3f5db3d7, v118
	v_fmac_f32_e32 v118, 0xbf5db3d7, v90
	v_add_f32_e32 v10, v20, v79
	v_add_f32_e32 v13, v95, v18
	;; [unrolled: 1-line block ×8, first 2 shown]
	v_fmamk_f32 v34, v92, 0xbf5db3d7, v24
	v_fmac_f32_e32 v24, 0x3f5db3d7, v92
	v_fmamk_f32 v35, v94, 0x3f5db3d7, v25
	v_fmac_f32_e32 v25, 0xbf5db3d7, v94
	v_fmamk_f32 v36, v97, 0xbf5db3d7, v121
	v_fmac_f32_e32 v121, 0x3f5db3d7, v97
	v_fmamk_f32 v37, v100, 0x3f5db3d7, v122
	v_fmac_f32_e32 v122, 0xbf5db3d7, v100
	v_fmamk_f32 v38, v102, 0xbf5db3d7, v26
	v_fmamk_f32 v39, v81, 0x3f5db3d7, v27
	v_fmac_f32_e32 v26, 0x3f5db3d7, v102
	v_fmac_f32_e32 v27, 0xbf5db3d7, v81
	v_fmamk_f32 v73, v107, 0xbf5db3d7, v125
	v_fmac_f32_e32 v125, 0x3f5db3d7, v107
	v_fmamk_f32 v74, v131, 0x3f5db3d7, v126
	;; [unrolled: 2-line block ×6, first 2 shown]
	v_fmac_f32_e32 v130, 0xbf5db3d7, v148
	ds_write2_b64 v135, v[2:3], v[30:31] offset0:34 offset1:142
	ds_write2_b64 v54, v[0:1], v[113:114] offset0:28 offset1:109
	;; [unrolled: 1-line block ×3, first 2 shown]
	ds_write_b64 v50, v[22:23] offset:5616
	ds_write_b64 v65, v[117:118] offset:4320
	ds_write_b64 v65, v[8:9]
	ds_write_b64 v65, v[6:7] offset:2160
	ds_write2_b64 v58, v[24:25], v[121:122] offset0:124 offset1:205
	ds_write2_b64 v59, v[10:11], v[12:13] offset0:96 offset1:177
	;; [unrolled: 1-line block ×3, first 2 shown]
	ds_write_b64 v136, v[14:15]
	ds_write_b64 v136, v[38:39] offset:2160
	ds_write_b64 v136, v[26:27] offset:4320
	;; [unrolled: 1-line block ×11, first 2 shown]
	v_lshlrev_b64 v[0:1], 3, v[46:47]
	v_add_co_u32 v2, s0, 0x1800, v72
	v_add_co_ci_u32_e64 v3, s0, 0, v77, s0
	v_lshlrev_b32_e32 v46, 1, v63
	v_add_co_u32 v0, s0, s12, v0
	v_add_co_ci_u32_e64 v1, s0, s13, v1, s0
	v_lshlrev_b64 v[12:13], 3, v[46:47]
	v_add_co_u32 v0, s0, 0x1800, v0
	v_add_co_ci_u32_e64 v1, s0, 0, v1, s0
	v_lshlrev_b32_e32 v46, 1, v66
	s_waitcnt lgkmcnt(0)
	s_barrier
	buffer_gl0_inv
	s_clause 0x1
	global_load_dwordx4 v[8:11], v[2:3], off offset:256
	global_load_dwordx4 v[4:7], v[0:1], off offset:256
	v_add_co_u32 v2, s0, s12, v12
	v_add_co_ci_u32_e64 v3, s0, s13, v13, s0
	v_lshlrev_b64 v[0:1], 3, v[46:47]
	v_add_co_u32 v2, s0, 0x1800, v2
	v_lshlrev_b32_e32 v46, 1, v68
	v_add_co_ci_u32_e64 v3, s0, 0, v3, s0
	v_add_co_u32 v12, s0, s12, v0
	v_add_co_ci_u32_e64 v13, s0, s13, v1, s0
	v_lshlrev_b64 v[0:1], 3, v[46:47]
	v_add_co_u32 v16, s0, 0x1800, v12
	v_lshlrev_b32_e32 v46, 1, v69
	v_add_co_ci_u32_e64 v17, s0, 0, v13, s0
	v_add_co_u32 v12, s0, s12, v0
	v_add_co_ci_u32_e64 v13, s0, s13, v1, s0
	v_lshlrev_b64 v[0:1], 3, v[46:47]
	v_add_co_u32 v20, s0, 0x1800, v12
	v_add_co_ci_u32_e64 v21, s0, 0, v13, s0
	v_lshlrev_b32_e32 v46, 1, v64
	v_add_co_u32 v0, s0, s12, v0
	v_add_co_ci_u32_e64 v1, s0, s13, v1, s0
	v_lshlrev_b64 v[28:29], 3, v[46:47]
	v_lshlrev_b32_e32 v46, 1, v67
	v_add_co_u32 v0, s0, 0x1800, v0
	v_add_co_ci_u32_e64 v1, s0, 0, v1, s0
	s_clause 0x3
	global_load_dwordx4 v[12:15], v[2:3], off offset:256
	global_load_dwordx4 v[16:19], v[16:17], off offset:256
	;; [unrolled: 1-line block ×4, first 2 shown]
	v_lshlrev_b64 v[0:1], 3, v[46:47]
	v_add_co_u32 v2, s0, s12, v28
	v_add_co_ci_u32_e64 v3, s0, s13, v29, s0
	v_add_co_u32 v28, s0, s12, v0
	v_add_co_ci_u32_e64 v29, s0, s13, v1, s0
	;; [unrolled: 2-line block ×4, first 2 shown]
	s_clause 0x1
	global_load_dwordx4 v[28:31], v[0:1], off offset:256
	global_load_dwordx4 v[32:35], v[2:3], off offset:256
	v_add_co_u32 v0, s0, 0x1800, v48
	v_add_co_ci_u32_e64 v1, s0, 0, v49, s0
	v_add_co_u32 v2, s0, 0x1800, v70
	v_add_co_ci_u32_e64 v3, s0, 0, v71, s0
	s_clause 0x1
	global_load_dwordx4 v[36:39], v[0:1], off offset:256
	global_load_dwordx4 v[63:66], v[2:3], off offset:256
	ds_read2_b64 v[67:70], v53 offset0:76 offset1:157
	ds_read2_b64 v[71:74], v61 offset0:118 offset1:199
	;; [unrolled: 1-line block ×8, first 2 shown]
	ds_read_b64 v[48:49], v50 offset:6480
	ds_read2_b64 v[99:102], v57 offset0:84 offset1:165
	ds_read2_b32 v[119:120], v59 offset0:246 offset1:247
	ds_read2_b64 v[0:3], v50 offset1:81
	ds_read2_b64 v[103:106], v50 offset0:162 offset1:243
	ds_read2_b64 v[107:110], v62 offset0:68 offset1:149
	;; [unrolled: 1-line block ×4, first 2 shown]
	s_waitcnt vmcnt(0) lgkmcnt(0)
	s_barrier
	buffer_gl0_inv
	v_mul_f32_e32 v46, v68, v9
	v_mul_f32_e32 v9, v67, v9
	;; [unrolled: 1-line block ×8, first 2 shown]
	v_fmac_f32_e32 v46, v67, v8
	v_fma_f32 v8, v68, v8, -v9
	v_fmac_f32_e32 v122, v69, v4
	v_fma_f32 v4, v70, v4, -v5
	;; [unrolled: 2-line block ×4, first 2 shown]
	v_add_f32_e32 v74, v4, v68
	v_add_f32_e32 v72, v46, v121
	;; [unrolled: 1-line block ×3, first 2 shown]
	v_sub_f32_e32 v73, v4, v68
	v_mul_f32_e32 v124, v76, v13
	v_mul_f32_e32 v13, v75, v13
	;; [unrolled: 1-line block ×14, first 2 shown]
	v_fmac_f32_e32 v124, v75, v12
	v_fma_f32 v12, v76, v12, -v13
	v_fmac_f32_e32 v125, v79, v14
	v_fma_f32 v13, v80, v14, -v15
	v_mul_f32_e32 v67, v90, v27
	v_mul_f32_e32 v10, v89, v27
	v_fmac_f32_e32 v126, v77, v16
	v_fma_f32 v16, v78, v16, -v17
	v_fmac_f32_e32 v127, v81, v18
	v_mul_f32_e32 v11, v92, v29
	v_mul_f32_e32 v69, v98, v35
	;; [unrolled: 1-line block ×8, first 2 shown]
	v_fma_f32 v17, v82, v18, -v19
	v_fmac_f32_e32 v128, v83, v20
	v_fma_f32 v18, v84, v20, -v21
	v_mul_f32_e32 v7, v37, v49
	v_mul_f32_e32 v35, v37, v48
	;; [unrolled: 1-line block ×8, first 2 shown]
	v_fma_f32 v19, v88, v22, -v23
	v_fmac_f32_e32 v130, v85, v24
	v_fma_f32 v20, v86, v24, -v25
	v_fma_f32 v24, v98, v34, -v6
	v_fmac_f32_e32 v7, v36, v48
	v_fma_f32 v6, v36, v49, -v35
	v_fmac_f32_e32 v37, v38, v99
	;; [unrolled: 2-line block ×3, first 2 shown]
	v_fmac_f32_e32 v14, v63, v119
	v_fma_f32 v25, v102, v65, -v66
	v_fma_f32 v15, v120, v63, -v15
	v_fmac_f32_e32 v129, v87, v22
	v_fmac_f32_e32 v67, v89, v26
	v_fma_f32 v21, v90, v26, -v10
	v_fmac_f32_e32 v11, v91, v28
	v_fma_f32 v10, v92, v28, -v27
	;; [unrolled: 2-line block ×4, first 2 shown]
	v_fmac_f32_e32 v69, v97, v34
	v_add_f32_e32 v26, v7, v37
	v_add_f32_e32 v27, v6, v23
	;; [unrolled: 1-line block ×6, first 2 shown]
	v_sub_f32_e32 v34, v6, v23
	v_sub_f32_e32 v35, v7, v37
	;; [unrolled: 1-line block ×3, first 2 shown]
	v_add_f32_e32 v7, v0, v7
	v_add_f32_e32 v6, v1, v6
	;; [unrolled: 1-line block ×5, first 2 shown]
	v_sub_f32_e32 v81, v16, v17
	v_add_f32_e32 v82, v16, v17
	v_add_f32_e32 v16, v112, v18
	v_sub_f32_e32 v85, v18, v19
	v_add_f32_e32 v86, v18, v19
	v_add_f32_e32 v18, v111, v128
	;; [unrolled: 3-line block ×3, first 2 shown]
	v_add_f32_e32 v48, v106, v4
	v_add_f32_e32 v49, v107, v124
	;; [unrolled: 1-line block ×16, first 2 shown]
	v_fma_f32 v0, -0.5, v26, v0
	v_fma_f32 v1, -0.5, v27, v1
	v_fma_f32 v2, -0.5, v28, v2
	v_fmac_f32_e32 v3, -0.5, v32
	v_sub_f32_e32 v66, v8, v9
	v_sub_f32_e32 v46, v46, v121
	;; [unrolled: 1-line block ×3, first 2 shown]
	v_add_f32_e32 v100, v118, v5
	v_sub_f32_e32 v101, v5, v24
	v_add_f32_e32 v4, v7, v37
	v_add_f32_e32 v5, v6, v23
	;; [unrolled: 1-line block ×8, first 2 shown]
	v_fma_f32 v18, -0.5, v72, v103
	v_fma_f32 v19, -0.5, v71, v104
	;; [unrolled: 1-line block ×3, first 2 shown]
	v_fmac_f32_e32 v106, -0.5, v74
	v_sub_f32_e32 v95, v10, v22
	v_sub_f32_e32 v99, v11, v29
	v_add_f32_e32 v8, v14, v121
	v_add_f32_e32 v10, v39, v123
	;; [unrolled: 1-line block ×3, first 2 shown]
	v_sub_f32_e32 v77, v12, v13
	v_sub_f32_e32 v80, v124, v125
	;; [unrolled: 1-line block ×3, first 2 shown]
	v_add_f32_e32 v12, v49, v125
	v_add_f32_e32 v13, v63, v13
	;; [unrolled: 1-line block ×3, first 2 shown]
	v_fma_f32 v26, -0.5, v79, v107
	v_fma_f32 v27, -0.5, v78, v108
	v_fma_f32 v109, -0.5, v83, v109
	v_fmac_f32_e32 v110, -0.5, v82
	v_sub_f32_e32 v88, v128, v129
	v_add_f32_e32 v89, v114, v20
	v_sub_f32_e32 v90, v20, v21
	v_add_f32_e32 v20, v113, v130
	;; [unrolled: 2-line block ×4, first 2 shown]
	v_add_f32_e32 v22, v97, v29
	v_fma_f32 v28, -0.5, v87, v111
	v_fma_f32 v29, -0.5, v86, v112
	v_fma_f32 v113, -0.5, v92, v113
	v_fmac_f32_e32 v114, -0.5, v91
	v_fma_f32 v30, -0.5, v98, v115
	v_fma_f32 v31, -0.5, v96, v116
	;; [unrolled: 1-line block ×3, first 2 shown]
	v_fmac_f32_e32 v118, -0.5, v102
	v_fmamk_f32 v32, v34, 0xbf5db3d7, v0
	v_fmac_f32_e32 v0, 0x3f5db3d7, v34
	v_fmamk_f32 v33, v35, 0x3f5db3d7, v1
	v_fmac_f32_e32 v1, 0xbf5db3d7, v35
	;; [unrolled: 2-line block ×4, first 2 shown]
	ds_write2_b64 v50, v[4:5], v[6:7] offset1:81
	ds_write2_b64 v50, v[8:9], v[10:11] offset0:162 offset1:243
	ds_write2_b64 v62, v[12:13], v[14:15] offset0:68 offset1:149
	v_fmamk_f32 v4, v66, 0xbf5db3d7, v18
	v_fmamk_f32 v5, v46, 0x3f5db3d7, v19
	;; [unrolled: 1-line block ×4, first 2 shown]
	v_fmac_f32_e32 v18, 0x3f5db3d7, v66
	v_fmac_f32_e32 v19, 0xbf5db3d7, v46
	;; [unrolled: 1-line block ×4, first 2 shown]
	v_fmamk_f32 v8, v77, 0xbf5db3d7, v26
	v_fmamk_f32 v9, v80, 0x3f5db3d7, v27
	;; [unrolled: 1-line block ×4, first 2 shown]
	v_add_f32_e32 v21, v89, v21
	v_add_f32_e32 v20, v20, v67
	;; [unrolled: 1-line block ×4, first 2 shown]
	v_fmac_f32_e32 v26, 0x3f5db3d7, v77
	v_fmac_f32_e32 v27, 0xbf5db3d7, v80
	;; [unrolled: 1-line block ×4, first 2 shown]
	v_fmamk_f32 v12, v85, 0xbf5db3d7, v28
	v_fmac_f32_e32 v28, 0x3f5db3d7, v85
	v_fmamk_f32 v13, v88, 0x3f5db3d7, v29
	v_fmac_f32_e32 v29, 0xbf5db3d7, v88
	v_fmamk_f32 v14, v90, 0xbf5db3d7, v113
	v_fmac_f32_e32 v113, 0x3f5db3d7, v90
	v_fmamk_f32 v15, v93, 0x3f5db3d7, v114
	v_fmac_f32_e32 v114, 0xbf5db3d7, v93
	v_fmamk_f32 v36, v95, 0xbf5db3d7, v30
	v_fmac_f32_e32 v30, 0x3f5db3d7, v95
	v_fmamk_f32 v37, v99, 0x3f5db3d7, v31
	v_fmac_f32_e32 v31, 0xbf5db3d7, v99
	v_fmamk_f32 v38, v101, 0xbf5db3d7, v117
	v_fmac_f32_e32 v117, 0x3f5db3d7, v101
	v_fmamk_f32 v39, v122, 0x3f5db3d7, v118
	v_fmac_f32_e32 v118, 0xbf5db3d7, v122
	ds_write2_b64 v57, v[0:1], v[2:3] offset0:84 offset1:165
	ds_write2_b64 v59, v[32:33], v[34:35] offset0:42 offset1:123
	;; [unrolled: 1-line block ×12, first 2 shown]
	s_waitcnt lgkmcnt(0)
	s_barrier
	buffer_gl0_inv
	s_and_saveexec_b32 s0, vcc_lo
	s_cbranch_execz .LBB0_21
; %bb.20:
	v_mul_lo_u32 v2, s3, v44
	v_mul_lo_u32 v3, s2, v45
	v_mad_u64_u32 v[0:1], null, s2, v44, 0
	v_lshl_add_u32 v22, v40, 3, 0
	v_add_nc_u32_e32 v46, 0x51, v40
	v_mov_b32_e32 v41, v47
	v_lshlrev_b64 v[8:9], 3, v[42:43]
	ds_read2_b64 v[4:7], v22 offset0:162 offset1:243
	v_add3_u32 v1, v1, v3, v2
	v_lshlrev_b64 v[10:11], 3, v[46:47]
	v_add_nc_u32_e32 v46, 0xa2, v40
	v_lshlrev_b64 v[14:15], 3, v[40:41]
	v_lshlrev_b64 v[12:13], 3, v[0:1]
	ds_read2_b64 v[0:3], v22 offset1:81
	v_lshlrev_b64 v[16:17], 3, v[46:47]
	v_add_nc_u32_e32 v46, 0xf3, v40
	v_add_co_u32 v12, vcc_lo, s10, v12
	v_add_co_ci_u32_e32 v13, vcc_lo, s11, v13, vcc_lo
	v_add_co_u32 v23, vcc_lo, v12, v8
	v_add_co_ci_u32_e32 v24, vcc_lo, v13, v9, vcc_lo
	v_lshlrev_b64 v[8:9], 3, v[46:47]
	v_add_co_u32 v12, vcc_lo, v23, v14
	v_add_co_ci_u32_e32 v13, vcc_lo, v24, v15, vcc_lo
	v_add_co_u32 v10, vcc_lo, v23, v10
	v_add_nc_u32_e32 v46, 0x144, v40
	v_add_co_ci_u32_e32 v11, vcc_lo, v24, v11, vcc_lo
	s_waitcnt lgkmcnt(0)
	global_store_dwordx2 v[12:13], v[0:1], off
	v_add_co_u32 v0, vcc_lo, v23, v16
	v_add_co_ci_u32_e32 v1, vcc_lo, v24, v17, vcc_lo
	v_add_co_u32 v8, vcc_lo, v23, v8
	v_lshlrev_b64 v[12:13], 3, v[46:47]
	v_add_nc_u32_e32 v46, 0x195, v40
	v_add_co_ci_u32_e32 v9, vcc_lo, v24, v9, vcc_lo
	v_add_nc_u32_e32 v14, 0x800, v22
	global_store_dwordx2 v[10:11], v[2:3], off
	global_store_dwordx2 v[0:1], v[4:5], off
	;; [unrolled: 1-line block ×3, first 2 shown]
	v_lshlrev_b64 v[8:9], 3, v[46:47]
	v_add_nc_u32_e32 v46, 0x1e6, v40
	v_add_nc_u32_e32 v4, 0xc00, v22
	ds_read2_b64 v[0:3], v14 offset0:68 offset1:149
	v_add_co_u32 v12, vcc_lo, v23, v12
	v_lshlrev_b64 v[10:11], 3, v[46:47]
	v_add_nc_u32_e32 v46, 0x237, v40
	v_add_co_ci_u32_e32 v13, vcc_lo, v24, v13, vcc_lo
	ds_read2_b64 v[4:7], v4 offset0:102 offset1:183
	v_add_co_u32 v14, vcc_lo, v23, v8
	v_add_co_ci_u32_e32 v15, vcc_lo, v24, v9, vcc_lo
	v_lshlrev_b64 v[8:9], 3, v[46:47]
	v_add_co_u32 v16, vcc_lo, v23, v10
	v_add_nc_u32_e32 v10, 0x1000, v22
	v_add_co_ci_u32_e32 v17, vcc_lo, v24, v11, vcc_lo
	v_add_nc_u32_e32 v46, 0x288, v40
	v_add_co_u32 v18, vcc_lo, v23, v8
	v_add_co_ci_u32_e32 v19, vcc_lo, v24, v9, vcc_lo
	ds_read2_b64 v[8:11], v10 offset0:136 offset1:217
	v_lshlrev_b64 v[20:21], 3, v[46:47]
	v_add_nc_u32_e32 v46, 0x2d9, v40
	s_waitcnt lgkmcnt(2)
	global_store_dwordx2 v[12:13], v[0:1], off
	global_store_dwordx2 v[14:15], v[2:3], off
	s_waitcnt lgkmcnt(1)
	global_store_dwordx2 v[16:17], v[4:5], off
	global_store_dwordx2 v[18:19], v[6:7], off
	v_add_nc_u32_e32 v4, 0x1800, v22
	v_add_nc_u32_e32 v5, 0x1c00, v22
	;; [unrolled: 1-line block ×3, first 2 shown]
	v_lshlrev_b64 v[0:1], 3, v[46:47]
	v_add_co_u32 v2, vcc_lo, v23, v20
	v_add_co_ci_u32_e32 v3, vcc_lo, v24, v21, vcc_lo
	v_add_nc_u32_e32 v46, 0x32a, v40
	v_add_co_u32 v0, vcc_lo, v23, v0
	v_add_co_ci_u32_e32 v1, vcc_lo, v24, v1, vcc_lo
	v_lshlrev_b64 v[12:13], 3, v[46:47]
	v_add_nc_u32_e32 v46, 0x37b, v40
	s_waitcnt lgkmcnt(0)
	global_store_dwordx2 v[2:3], v[8:9], off
	global_store_dwordx2 v[0:1], v[10:11], off
	ds_read2_b64 v[0:3], v4 offset0:42 offset1:123
	ds_read2_b64 v[4:7], v5 offset0:76 offset1:157
	v_lshlrev_b64 v[8:9], 3, v[46:47]
	v_add_nc_u32_e32 v46, 0x3cc, v40
	v_add_co_u32 v10, vcc_lo, v23, v12
	v_add_co_ci_u32_e32 v11, vcc_lo, v24, v13, vcc_lo
	v_lshlrev_b64 v[12:13], 3, v[46:47]
	v_add_co_u32 v8, vcc_lo, v23, v8
	v_add_co_ci_u32_e32 v9, vcc_lo, v24, v9, vcc_lo
	v_add_nc_u32_e32 v46, 0x41d, v40
	v_add_co_u32 v12, vcc_lo, v23, v12
	v_add_co_ci_u32_e32 v13, vcc_lo, v24, v13, vcc_lo
	v_lshlrev_b64 v[14:15], 3, v[46:47]
	v_add_nc_u32_e32 v46, 0x46e, v40
	s_waitcnt lgkmcnt(1)
	global_store_dwordx2 v[10:11], v[0:1], off
	global_store_dwordx2 v[8:9], v[2:3], off
	s_waitcnt lgkmcnt(0)
	global_store_dwordx2 v[12:13], v[4:5], off
	ds_read2_b64 v[0:3], v16 offset0:110 offset1:191
	v_lshlrev_b64 v[4:5], 3, v[46:47]
	v_add_nc_u32_e32 v46, 0x4bf, v40
	v_add_co_u32 v8, vcc_lo, v23, v14
	v_add_co_ci_u32_e32 v9, vcc_lo, v24, v15, vcc_lo
	v_lshlrev_b64 v[10:11], 3, v[46:47]
	v_add_nc_u32_e32 v46, 0x510, v40
	v_add_co_u32 v4, vcc_lo, v23, v4
	v_add_co_ci_u32_e32 v5, vcc_lo, v24, v5, vcc_lo
	v_add_co_u32 v10, vcc_lo, v23, v10
	v_lshlrev_b64 v[12:13], 3, v[46:47]
	v_add_nc_u32_e32 v46, 0x561, v40
	v_add_co_ci_u32_e32 v11, vcc_lo, v24, v11, vcc_lo
	global_store_dwordx2 v[8:9], v[6:7], off
	s_waitcnt lgkmcnt(0)
	global_store_dwordx2 v[4:5], v[0:1], off
	global_store_dwordx2 v[10:11], v[2:3], off
	v_lshlrev_b64 v[8:9], 3, v[46:47]
	v_add_nc_u32_e32 v46, 0x5b2, v40
	v_add_nc_u32_e32 v14, 0x2800, v22
	;; [unrolled: 1-line block ×3, first 2 shown]
	v_add_co_u32 v12, vcc_lo, v23, v12
	v_lshlrev_b64 v[10:11], 3, v[46:47]
	v_add_nc_u32_e32 v46, 0x603, v40
	ds_read2_b64 v[0:3], v14 offset0:16 offset1:97
	v_add_co_ci_u32_e32 v13, vcc_lo, v24, v13, vcc_lo
	ds_read2_b64 v[4:7], v4 offset0:50 offset1:131
	v_add_co_u32 v14, vcc_lo, v23, v8
	v_add_co_ci_u32_e32 v15, vcc_lo, v24, v9, vcc_lo
	v_lshlrev_b64 v[8:9], 3, v[46:47]
	v_add_co_u32 v16, vcc_lo, v23, v10
	v_add_nc_u32_e32 v10, 0x3000, v22
	v_add_co_ci_u32_e32 v17, vcc_lo, v24, v11, vcc_lo
	v_add_nc_u32_e32 v46, 0x654, v40
	v_add_co_u32 v18, vcc_lo, v23, v8
	v_add_co_ci_u32_e32 v19, vcc_lo, v24, v9, vcc_lo
	ds_read2_b64 v[8:11], v10 offset0:84 offset1:165
	v_lshlrev_b64 v[20:21], 3, v[46:47]
	v_add_nc_u32_e32 v46, 0x6a5, v40
	s_waitcnt lgkmcnt(2)
	global_store_dwordx2 v[12:13], v[0:1], off
	global_store_dwordx2 v[14:15], v[2:3], off
	s_waitcnt lgkmcnt(1)
	global_store_dwordx2 v[16:17], v[4:5], off
	global_store_dwordx2 v[18:19], v[6:7], off
	v_add_nc_u32_e32 v4, 0x3400, v22
	v_add_nc_u32_e32 v5, 0x3800, v22
	v_lshlrev_b64 v[0:1], 3, v[46:47]
	v_add_co_u32 v2, vcc_lo, v23, v20
	v_add_co_ci_u32_e32 v3, vcc_lo, v24, v21, vcc_lo
	v_add_nc_u32_e32 v46, 0x6f6, v40
	v_add_co_u32 v0, vcc_lo, v23, v0
	v_add_co_ci_u32_e32 v1, vcc_lo, v24, v1, vcc_lo
	v_lshlrev_b64 v[12:13], 3, v[46:47]
	v_add_nc_u32_e32 v46, 0x747, v40
	s_waitcnt lgkmcnt(0)
	global_store_dwordx2 v[2:3], v[8:9], off
	global_store_dwordx2 v[0:1], v[10:11], off
	ds_read2_b64 v[0:3], v4 offset0:118 offset1:199
	ds_read2_b64 v[4:7], v5 offset0:152 offset1:233
	v_lshlrev_b64 v[8:9], 3, v[46:47]
	v_add_nc_u32_e32 v46, 0x798, v40
	v_add_co_u32 v10, vcc_lo, v23, v12
	v_add_co_ci_u32_e32 v11, vcc_lo, v24, v13, vcc_lo
	v_lshlrev_b64 v[12:13], 3, v[46:47]
	v_add_nc_u32_e32 v46, 0x7e9, v40
	v_add_co_u32 v8, vcc_lo, v23, v8
	v_add_co_ci_u32_e32 v9, vcc_lo, v24, v9, vcc_lo
	v_add_co_u32 v12, vcc_lo, v23, v12
	v_lshlrev_b64 v[14:15], 3, v[46:47]
	v_add_nc_u32_e32 v46, 0x83a, v40
	v_add_co_ci_u32_e32 v13, vcc_lo, v24, v13, vcc_lo
	s_waitcnt lgkmcnt(1)
	global_store_dwordx2 v[10:11], v[0:1], off
	global_store_dwordx2 v[8:9], v[2:3], off
	s_waitcnt lgkmcnt(0)
	global_store_dwordx2 v[12:13], v[4:5], off
	v_add_nc_u32_e32 v0, 0x4000, v22
	v_lshlrev_b64 v[4:5], 3, v[46:47]
	v_add_nc_u32_e32 v46, 0x88b, v40
	v_add_nc_u32_e32 v8, 0x4400, v22
	v_add_co_u32 v12, vcc_lo, v23, v14
	v_add_co_ci_u32_e32 v13, vcc_lo, v24, v15, vcc_lo
	ds_read2_b64 v[0:3], v0 offset0:58 offset1:139
	v_lshlrev_b64 v[14:15], 3, v[46:47]
	v_add_nc_u32_e32 v46, 0x8dc, v40
	ds_read2_b64 v[8:11], v8 offset0:92 offset1:173
	v_add_co_u32 v4, vcc_lo, v23, v4
	v_add_co_ci_u32_e32 v5, vcc_lo, v24, v5, vcc_lo
	v_lshlrev_b64 v[16:17], 3, v[46:47]
	v_add_nc_u32_e32 v46, 0x92d, v40
	v_add_co_u32 v14, vcc_lo, v23, v14
	v_add_co_ci_u32_e32 v15, vcc_lo, v24, v15, vcc_lo
	v_lshlrev_b64 v[18:19], 3, v[46:47]
	v_add_co_u32 v16, vcc_lo, v23, v16
	v_add_co_ci_u32_e32 v17, vcc_lo, v24, v17, vcc_lo
	v_add_co_u32 v18, vcc_lo, v23, v18
	v_add_co_ci_u32_e32 v19, vcc_lo, v24, v19, vcc_lo
	global_store_dwordx2 v[12:13], v[6:7], off
	s_waitcnt lgkmcnt(1)
	global_store_dwordx2 v[4:5], v[0:1], off
	global_store_dwordx2 v[14:15], v[2:3], off
	s_waitcnt lgkmcnt(0)
	global_store_dwordx2 v[16:17], v[8:9], off
	global_store_dwordx2 v[18:19], v[10:11], off
.LBB0_21:
	s_endpgm
	.section	.rodata,"a",@progbits
	.p2align	6, 0x0
	.amdhsa_kernel fft_rtc_back_len2430_factors_10_3_3_3_3_3_wgs_81_tpt_81_halfLds_sp_op_CI_CI_unitstride_sbrr_C2R_dirReg
		.amdhsa_group_segment_fixed_size 0
		.amdhsa_private_segment_fixed_size 0
		.amdhsa_kernarg_size 104
		.amdhsa_user_sgpr_count 6
		.amdhsa_user_sgpr_private_segment_buffer 1
		.amdhsa_user_sgpr_dispatch_ptr 0
		.amdhsa_user_sgpr_queue_ptr 0
		.amdhsa_user_sgpr_kernarg_segment_ptr 1
		.amdhsa_user_sgpr_dispatch_id 0
		.amdhsa_user_sgpr_flat_scratch_init 0
		.amdhsa_user_sgpr_private_segment_size 0
		.amdhsa_wavefront_size32 1
		.amdhsa_uses_dynamic_stack 0
		.amdhsa_system_sgpr_private_segment_wavefront_offset 0
		.amdhsa_system_sgpr_workgroup_id_x 1
		.amdhsa_system_sgpr_workgroup_id_y 0
		.amdhsa_system_sgpr_workgroup_id_z 0
		.amdhsa_system_sgpr_workgroup_info 0
		.amdhsa_system_vgpr_workitem_id 0
		.amdhsa_next_free_vgpr 160
		.amdhsa_next_free_sgpr 27
		.amdhsa_reserve_vcc 1
		.amdhsa_reserve_flat_scratch 0
		.amdhsa_float_round_mode_32 0
		.amdhsa_float_round_mode_16_64 0
		.amdhsa_float_denorm_mode_32 3
		.amdhsa_float_denorm_mode_16_64 3
		.amdhsa_dx10_clamp 1
		.amdhsa_ieee_mode 1
		.amdhsa_fp16_overflow 0
		.amdhsa_workgroup_processor_mode 1
		.amdhsa_memory_ordered 1
		.amdhsa_forward_progress 0
		.amdhsa_shared_vgpr_count 0
		.amdhsa_exception_fp_ieee_invalid_op 0
		.amdhsa_exception_fp_denorm_src 0
		.amdhsa_exception_fp_ieee_div_zero 0
		.amdhsa_exception_fp_ieee_overflow 0
		.amdhsa_exception_fp_ieee_underflow 0
		.amdhsa_exception_fp_ieee_inexact 0
		.amdhsa_exception_int_div_zero 0
	.end_amdhsa_kernel
	.text
.Lfunc_end0:
	.size	fft_rtc_back_len2430_factors_10_3_3_3_3_3_wgs_81_tpt_81_halfLds_sp_op_CI_CI_unitstride_sbrr_C2R_dirReg, .Lfunc_end0-fft_rtc_back_len2430_factors_10_3_3_3_3_3_wgs_81_tpt_81_halfLds_sp_op_CI_CI_unitstride_sbrr_C2R_dirReg
                                        ; -- End function
	.section	.AMDGPU.csdata,"",@progbits
; Kernel info:
; codeLenInByte = 20044
; NumSgprs: 29
; NumVgprs: 160
; ScratchSize: 0
; MemoryBound: 0
; FloatMode: 240
; IeeeMode: 1
; LDSByteSize: 0 bytes/workgroup (compile time only)
; SGPRBlocks: 3
; VGPRBlocks: 19
; NumSGPRsForWavesPerEU: 29
; NumVGPRsForWavesPerEU: 160
; Occupancy: 6
; WaveLimiterHint : 1
; COMPUTE_PGM_RSRC2:SCRATCH_EN: 0
; COMPUTE_PGM_RSRC2:USER_SGPR: 6
; COMPUTE_PGM_RSRC2:TRAP_HANDLER: 0
; COMPUTE_PGM_RSRC2:TGID_X_EN: 1
; COMPUTE_PGM_RSRC2:TGID_Y_EN: 0
; COMPUTE_PGM_RSRC2:TGID_Z_EN: 0
; COMPUTE_PGM_RSRC2:TIDIG_COMP_CNT: 0
	.text
	.p2alignl 6, 3214868480
	.fill 48, 4, 3214868480
	.type	__hip_cuid_b9910e62b02c161d,@object ; @__hip_cuid_b9910e62b02c161d
	.section	.bss,"aw",@nobits
	.globl	__hip_cuid_b9910e62b02c161d
__hip_cuid_b9910e62b02c161d:
	.byte	0                               ; 0x0
	.size	__hip_cuid_b9910e62b02c161d, 1

	.ident	"AMD clang version 19.0.0git (https://github.com/RadeonOpenCompute/llvm-project roc-6.4.0 25133 c7fe45cf4b819c5991fe208aaa96edf142730f1d)"
	.section	".note.GNU-stack","",@progbits
	.addrsig
	.addrsig_sym __hip_cuid_b9910e62b02c161d
	.amdgpu_metadata
---
amdhsa.kernels:
  - .args:
      - .actual_access:  read_only
        .address_space:  global
        .offset:         0
        .size:           8
        .value_kind:     global_buffer
      - .offset:         8
        .size:           8
        .value_kind:     by_value
      - .actual_access:  read_only
        .address_space:  global
        .offset:         16
        .size:           8
        .value_kind:     global_buffer
      - .actual_access:  read_only
        .address_space:  global
        .offset:         24
        .size:           8
        .value_kind:     global_buffer
      - .actual_access:  read_only
        .address_space:  global
        .offset:         32
        .size:           8
        .value_kind:     global_buffer
      - .offset:         40
        .size:           8
        .value_kind:     by_value
      - .actual_access:  read_only
        .address_space:  global
        .offset:         48
        .size:           8
        .value_kind:     global_buffer
      - .actual_access:  read_only
        .address_space:  global
        .offset:         56
        .size:           8
        .value_kind:     global_buffer
      - .offset:         64
        .size:           4
        .value_kind:     by_value
      - .actual_access:  read_only
        .address_space:  global
        .offset:         72
        .size:           8
        .value_kind:     global_buffer
      - .actual_access:  read_only
        .address_space:  global
        .offset:         80
        .size:           8
        .value_kind:     global_buffer
      - .actual_access:  read_only
        .address_space:  global
        .offset:         88
        .size:           8
        .value_kind:     global_buffer
      - .actual_access:  write_only
        .address_space:  global
        .offset:         96
        .size:           8
        .value_kind:     global_buffer
    .group_segment_fixed_size: 0
    .kernarg_segment_align: 8
    .kernarg_segment_size: 104
    .language:       OpenCL C
    .language_version:
      - 2
      - 0
    .max_flat_workgroup_size: 81
    .name:           fft_rtc_back_len2430_factors_10_3_3_3_3_3_wgs_81_tpt_81_halfLds_sp_op_CI_CI_unitstride_sbrr_C2R_dirReg
    .private_segment_fixed_size: 0
    .sgpr_count:     29
    .sgpr_spill_count: 0
    .symbol:         fft_rtc_back_len2430_factors_10_3_3_3_3_3_wgs_81_tpt_81_halfLds_sp_op_CI_CI_unitstride_sbrr_C2R_dirReg.kd
    .uniform_work_group_size: 1
    .uses_dynamic_stack: false
    .vgpr_count:     160
    .vgpr_spill_count: 0
    .wavefront_size: 32
    .workgroup_processor_mode: 1
amdhsa.target:   amdgcn-amd-amdhsa--gfx1030
amdhsa.version:
  - 1
  - 2
...

	.end_amdgpu_metadata
